;; amdgpu-corpus repo=ROCm/rocFFT kind=compiled arch=gfx1030 opt=O3
	.text
	.amdgcn_target "amdgcn-amd-amdhsa--gfx1030"
	.amdhsa_code_object_version 6
	.protected	fft_rtc_fwd_len1008_factors_2_2_2_2_3_3_7_wgs_56_tpt_56_halfLds_half_op_CI_CI_unitstride_sbrr_R2C_dirReg ; -- Begin function fft_rtc_fwd_len1008_factors_2_2_2_2_3_3_7_wgs_56_tpt_56_halfLds_half_op_CI_CI_unitstride_sbrr_R2C_dirReg
	.globl	fft_rtc_fwd_len1008_factors_2_2_2_2_3_3_7_wgs_56_tpt_56_halfLds_half_op_CI_CI_unitstride_sbrr_R2C_dirReg
	.p2align	8
	.type	fft_rtc_fwd_len1008_factors_2_2_2_2_3_3_7_wgs_56_tpt_56_halfLds_half_op_CI_CI_unitstride_sbrr_R2C_dirReg,@function
fft_rtc_fwd_len1008_factors_2_2_2_2_3_3_7_wgs_56_tpt_56_halfLds_half_op_CI_CI_unitstride_sbrr_R2C_dirReg: ; @fft_rtc_fwd_len1008_factors_2_2_2_2_3_3_7_wgs_56_tpt_56_halfLds_half_op_CI_CI_unitstride_sbrr_R2C_dirReg
; %bb.0:
	s_clause 0x2
	s_load_dwordx4 s[12:15], s[4:5], 0x0
	s_load_dwordx4 s[8:11], s[4:5], 0x58
	;; [unrolled: 1-line block ×3, first 2 shown]
	v_mul_u32_u24_e32 v1, 0x493, v0
	v_mov_b32_e32 v3, 0
	v_mov_b32_e32 v17, 0
	;; [unrolled: 1-line block ×3, first 2 shown]
	v_add_nc_u32_sdwa v5, s6, v1 dst_sel:DWORD dst_unused:UNUSED_PAD src0_sel:DWORD src1_sel:WORD_1
	v_mov_b32_e32 v6, v3
	s_waitcnt lgkmcnt(0)
	v_cmp_lt_u64_e64 s0, s[14:15], 2
	s_and_b32 vcc_lo, exec_lo, s0
	s_cbranch_vccnz .LBB0_8
; %bb.1:
	s_load_dwordx2 s[0:1], s[4:5], 0x10
	v_mov_b32_e32 v17, 0
	v_mov_b32_e32 v18, 0
	s_add_u32 s2, s18, 8
	s_addc_u32 s3, s19, 0
	v_mov_b32_e32 v1, v17
	s_add_u32 s6, s16, 8
	v_mov_b32_e32 v2, v18
	s_addc_u32 s7, s17, 0
	s_mov_b64 s[22:23], 1
	s_waitcnt lgkmcnt(0)
	s_add_u32 s20, s0, 8
	s_addc_u32 s21, s1, 0
.LBB0_2:                                ; =>This Inner Loop Header: Depth=1
	s_load_dwordx2 s[24:25], s[20:21], 0x0
                                        ; implicit-def: $vgpr7_vgpr8
	s_mov_b32 s0, exec_lo
	s_waitcnt lgkmcnt(0)
	v_or_b32_e32 v4, s25, v6
	v_cmpx_ne_u64_e32 0, v[3:4]
	s_xor_b32 s1, exec_lo, s0
	s_cbranch_execz .LBB0_4
; %bb.3:                                ;   in Loop: Header=BB0_2 Depth=1
	v_cvt_f32_u32_e32 v4, s24
	v_cvt_f32_u32_e32 v7, s25
	s_sub_u32 s0, 0, s24
	s_subb_u32 s26, 0, s25
	v_fmac_f32_e32 v4, 0x4f800000, v7
	v_rcp_f32_e32 v4, v4
	v_mul_f32_e32 v4, 0x5f7ffffc, v4
	v_mul_f32_e32 v7, 0x2f800000, v4
	v_trunc_f32_e32 v7, v7
	v_fmac_f32_e32 v4, 0xcf800000, v7
	v_cvt_u32_f32_e32 v7, v7
	v_cvt_u32_f32_e32 v4, v4
	v_mul_lo_u32 v8, s0, v7
	v_mul_hi_u32 v9, s0, v4
	v_mul_lo_u32 v10, s26, v4
	v_add_nc_u32_e32 v8, v9, v8
	v_mul_lo_u32 v9, s0, v4
	v_add_nc_u32_e32 v8, v8, v10
	v_mul_hi_u32 v10, v4, v9
	v_mul_lo_u32 v11, v4, v8
	v_mul_hi_u32 v12, v4, v8
	v_mul_hi_u32 v13, v7, v9
	v_mul_lo_u32 v9, v7, v9
	v_mul_hi_u32 v14, v7, v8
	v_mul_lo_u32 v8, v7, v8
	v_add_co_u32 v10, vcc_lo, v10, v11
	v_add_co_ci_u32_e32 v11, vcc_lo, 0, v12, vcc_lo
	v_add_co_u32 v9, vcc_lo, v10, v9
	v_add_co_ci_u32_e32 v9, vcc_lo, v11, v13, vcc_lo
	v_add_co_ci_u32_e32 v10, vcc_lo, 0, v14, vcc_lo
	v_add_co_u32 v8, vcc_lo, v9, v8
	v_add_co_ci_u32_e32 v9, vcc_lo, 0, v10, vcc_lo
	v_add_co_u32 v4, vcc_lo, v4, v8
	v_add_co_ci_u32_e32 v7, vcc_lo, v7, v9, vcc_lo
	v_mul_hi_u32 v8, s0, v4
	v_mul_lo_u32 v10, s26, v4
	v_mul_lo_u32 v9, s0, v7
	v_add_nc_u32_e32 v8, v8, v9
	v_mul_lo_u32 v9, s0, v4
	v_add_nc_u32_e32 v8, v8, v10
	v_mul_hi_u32 v10, v4, v9
	v_mul_lo_u32 v11, v4, v8
	v_mul_hi_u32 v12, v4, v8
	v_mul_hi_u32 v13, v7, v9
	v_mul_lo_u32 v9, v7, v9
	v_mul_hi_u32 v14, v7, v8
	v_mul_lo_u32 v8, v7, v8
	v_add_co_u32 v10, vcc_lo, v10, v11
	v_add_co_ci_u32_e32 v11, vcc_lo, 0, v12, vcc_lo
	v_add_co_u32 v9, vcc_lo, v10, v9
	v_add_co_ci_u32_e32 v9, vcc_lo, v11, v13, vcc_lo
	v_add_co_ci_u32_e32 v10, vcc_lo, 0, v14, vcc_lo
	v_add_co_u32 v8, vcc_lo, v9, v8
	v_add_co_ci_u32_e32 v9, vcc_lo, 0, v10, vcc_lo
	v_add_co_u32 v4, vcc_lo, v4, v8
	v_add_co_ci_u32_e32 v11, vcc_lo, v7, v9, vcc_lo
	v_mul_hi_u32 v13, v5, v4
	v_mad_u64_u32 v[9:10], null, v6, v4, 0
	v_mad_u64_u32 v[7:8], null, v5, v11, 0
	;; [unrolled: 1-line block ×3, first 2 shown]
	v_add_co_u32 v4, vcc_lo, v13, v7
	v_add_co_ci_u32_e32 v7, vcc_lo, 0, v8, vcc_lo
	v_add_co_u32 v4, vcc_lo, v4, v9
	v_add_co_ci_u32_e32 v4, vcc_lo, v7, v10, vcc_lo
	v_add_co_ci_u32_e32 v7, vcc_lo, 0, v12, vcc_lo
	v_add_co_u32 v4, vcc_lo, v4, v11
	v_add_co_ci_u32_e32 v9, vcc_lo, 0, v7, vcc_lo
	v_mul_lo_u32 v10, s25, v4
	v_mad_u64_u32 v[7:8], null, s24, v4, 0
	v_mul_lo_u32 v11, s24, v9
	v_sub_co_u32 v7, vcc_lo, v5, v7
	v_add3_u32 v8, v8, v11, v10
	v_sub_nc_u32_e32 v10, v6, v8
	v_subrev_co_ci_u32_e64 v10, s0, s25, v10, vcc_lo
	v_add_co_u32 v11, s0, v4, 2
	v_add_co_ci_u32_e64 v12, s0, 0, v9, s0
	v_sub_co_u32 v13, s0, v7, s24
	v_sub_co_ci_u32_e32 v8, vcc_lo, v6, v8, vcc_lo
	v_subrev_co_ci_u32_e64 v10, s0, 0, v10, s0
	v_cmp_le_u32_e32 vcc_lo, s24, v13
	v_cmp_eq_u32_e64 s0, s25, v8
	v_cndmask_b32_e64 v13, 0, -1, vcc_lo
	v_cmp_le_u32_e32 vcc_lo, s25, v10
	v_cndmask_b32_e64 v14, 0, -1, vcc_lo
	v_cmp_le_u32_e32 vcc_lo, s24, v7
	;; [unrolled: 2-line block ×3, first 2 shown]
	v_cndmask_b32_e64 v15, 0, -1, vcc_lo
	v_cmp_eq_u32_e32 vcc_lo, s25, v10
	v_cndmask_b32_e64 v7, v15, v7, s0
	v_cndmask_b32_e32 v10, v14, v13, vcc_lo
	v_add_co_u32 v13, vcc_lo, v4, 1
	v_add_co_ci_u32_e32 v14, vcc_lo, 0, v9, vcc_lo
	v_cmp_ne_u32_e32 vcc_lo, 0, v10
	v_cndmask_b32_e32 v8, v14, v12, vcc_lo
	v_cndmask_b32_e32 v10, v13, v11, vcc_lo
	v_cmp_ne_u32_e32 vcc_lo, 0, v7
	v_cndmask_b32_e32 v8, v9, v8, vcc_lo
	v_cndmask_b32_e32 v7, v4, v10, vcc_lo
.LBB0_4:                                ;   in Loop: Header=BB0_2 Depth=1
	s_andn2_saveexec_b32 s0, s1
	s_cbranch_execz .LBB0_6
; %bb.5:                                ;   in Loop: Header=BB0_2 Depth=1
	v_cvt_f32_u32_e32 v4, s24
	s_sub_i32 s1, 0, s24
	v_rcp_iflag_f32_e32 v4, v4
	v_mul_f32_e32 v4, 0x4f7ffffe, v4
	v_cvt_u32_f32_e32 v4, v4
	v_mul_lo_u32 v7, s1, v4
	v_mul_hi_u32 v7, v4, v7
	v_add_nc_u32_e32 v4, v4, v7
	v_mul_hi_u32 v4, v5, v4
	v_mul_lo_u32 v7, v4, s24
	v_add_nc_u32_e32 v8, 1, v4
	v_sub_nc_u32_e32 v7, v5, v7
	v_subrev_nc_u32_e32 v9, s24, v7
	v_cmp_le_u32_e32 vcc_lo, s24, v7
	v_cndmask_b32_e32 v7, v7, v9, vcc_lo
	v_cndmask_b32_e32 v4, v4, v8, vcc_lo
	v_cmp_le_u32_e32 vcc_lo, s24, v7
	v_add_nc_u32_e32 v8, 1, v4
	v_cndmask_b32_e32 v7, v4, v8, vcc_lo
	v_mov_b32_e32 v8, v3
.LBB0_6:                                ;   in Loop: Header=BB0_2 Depth=1
	s_or_b32 exec_lo, exec_lo, s0
	v_mul_lo_u32 v4, v8, s24
	v_mul_lo_u32 v11, v7, s25
	s_load_dwordx2 s[0:1], s[6:7], 0x0
	v_mad_u64_u32 v[9:10], null, v7, s24, 0
	s_load_dwordx2 s[24:25], s[2:3], 0x0
	s_add_u32 s22, s22, 1
	s_addc_u32 s23, s23, 0
	s_add_u32 s2, s2, 8
	s_addc_u32 s3, s3, 0
	s_add_u32 s6, s6, 8
	v_add3_u32 v4, v10, v11, v4
	v_sub_co_u32 v5, vcc_lo, v5, v9
	s_addc_u32 s7, s7, 0
	s_add_u32 s20, s20, 8
	v_sub_co_ci_u32_e32 v4, vcc_lo, v6, v4, vcc_lo
	s_addc_u32 s21, s21, 0
	s_waitcnt lgkmcnt(0)
	v_mul_lo_u32 v6, s0, v4
	v_mul_lo_u32 v9, s1, v5
	v_mad_u64_u32 v[17:18], null, s0, v5, v[17:18]
	v_mul_lo_u32 v4, s24, v4
	v_mul_lo_u32 v10, s25, v5
	v_mad_u64_u32 v[1:2], null, s24, v5, v[1:2]
	v_cmp_ge_u64_e64 s0, s[22:23], s[14:15]
	v_add3_u32 v18, v9, v18, v6
	v_add3_u32 v2, v10, v2, v4
	s_and_b32 vcc_lo, exec_lo, s0
	s_cbranch_vccnz .LBB0_9
; %bb.7:                                ;   in Loop: Header=BB0_2 Depth=1
	v_mov_b32_e32 v5, v7
	v_mov_b32_e32 v6, v8
	s_branch .LBB0_2
.LBB0_8:
	v_mov_b32_e32 v1, v17
	v_mov_b32_e32 v8, v6
	;; [unrolled: 1-line block ×4, first 2 shown]
.LBB0_9:
	s_load_dwordx2 s[0:1], s[4:5], 0x28
	v_mul_hi_u32 v4, 0x4924925, v0
	s_lshl_b64 s[4:5], s[14:15], 3
                                        ; implicit-def: $vgpr3
                                        ; implicit-def: $vgpr5
                                        ; implicit-def: $vgpr16
                                        ; implicit-def: $vgpr15
                                        ; implicit-def: $vgpr14
                                        ; implicit-def: $vgpr13
                                        ; implicit-def: $vgpr12
                                        ; implicit-def: $vgpr9
                                        ; implicit-def: $vgpr11
	s_add_u32 s2, s18, s4
	s_addc_u32 s3, s19, s5
	s_waitcnt lgkmcnt(0)
	v_cmp_gt_u64_e32 vcc_lo, s[0:1], v[7:8]
	v_cmp_le_u64_e64 s0, s[0:1], v[7:8]
	s_and_saveexec_b32 s1, s0
	s_xor_b32 s0, exec_lo, s1
; %bb.10:
	v_mul_u32_u24_e32 v3, 56, v4
                                        ; implicit-def: $vgpr4
                                        ; implicit-def: $vgpr17_vgpr18
	v_sub_nc_u32_e32 v3, v0, v3
                                        ; implicit-def: $vgpr0
	v_add_nc_u32_e32 v5, 56, v3
	v_add_nc_u32_e32 v16, 0x70, v3
	;; [unrolled: 1-line block ×7, first 2 shown]
	v_or_b32_e32 v11, 0x1c0, v3
; %bb.11:
	s_andn2_saveexec_b32 s1, s0
	s_cbranch_execz .LBB0_13
; %bb.12:
	s_add_u32 s4, s16, s4
	s_addc_u32 s5, s17, s5
	s_load_dwordx2 s[4:5], s[4:5], 0x0
	s_waitcnt lgkmcnt(0)
	v_mul_lo_u32 v3, s5, v7
	v_mul_lo_u32 v9, s4, v8
	v_mad_u64_u32 v[5:6], null, s4, v7, 0
	v_add3_u32 v6, v6, v9, v3
	v_mul_u32_u24_e32 v3, 56, v4
	v_lshlrev_b64 v[9:10], 2, v[17:18]
	v_lshlrev_b64 v[4:5], 2, v[5:6]
	v_sub_nc_u32_e32 v3, v0, v3
	v_lshlrev_b32_e32 v6, 2, v3
	v_add_co_u32 v0, s0, s8, v4
	v_add_co_ci_u32_e64 v4, s0, s9, v5, s0
	v_add_nc_u32_e32 v16, 0x70, v3
	v_add_co_u32 v0, s0, v0, v9
	v_add_co_ci_u32_e64 v10, s0, v4, v10, s0
	v_or_b32_e32 v9, 0xe00, v6
	v_add_co_u32 v4, s0, v0, v6
	v_add_co_ci_u32_e64 v5, s0, 0, v10, s0
	v_add_co_u32 v9, s0, v0, v9
	v_add_co_ci_u32_e64 v10, s0, 0, v10, s0
	;; [unrolled: 2-line block ×3, first 2 shown]
	s_clause 0x11
	global_load_dword v0, v[4:5], off
	global_load_dword v17, v[4:5], off offset:224
	global_load_dword v18, v[4:5], off offset:448
	;; [unrolled: 1-line block ×15, first 2 shown]
	global_load_dword v10, v[9:10], off
	global_load_dword v31, v[11:12], off offset:1760
	v_add_nc_u32_e32 v6, 0, v6
	v_add_nc_u32_e32 v5, 56, v3
	v_add_nc_u32_e32 v15, 0xa8, v3
	v_add_nc_u32_e32 v14, 0xe0, v3
	v_add_nc_u32_e32 v13, 0x118, v3
	v_add_nc_u32_e32 v12, 0x150, v3
	v_add_nc_u32_e32 v9, 0x188, v3
	v_or_b32_e32 v11, 0x1c0, v3
	v_add_nc_u32_e32 v32, 0x200, v6
	v_add_nc_u32_e32 v33, 0x400, v6
	;; [unrolled: 1-line block ×4, first 2 shown]
	s_waitcnt vmcnt(16)
	ds_write2_b32 v6, v0, v17 offset1:56
	s_waitcnt vmcnt(14)
	ds_write2_b32 v6, v18, v19 offset0:112 offset1:168
	s_waitcnt vmcnt(12)
	ds_write2_b32 v32, v20, v21 offset0:96 offset1:152
	;; [unrolled: 2-line block ×8, first 2 shown]
.LBB0_13:
	s_or_b32 exec_lo, exec_lo, s1
	v_lshlrev_b32_e32 v4, 2, v3
	s_load_dwordx2 s[2:3], s[2:3], 0x0
	s_waitcnt lgkmcnt(0)
	s_barrier
	buffer_gl0_inv
	v_add_nc_u32_e32 v10, 0, v4
	v_lshl_add_u32 v49, v5, 3, 0
	v_lshl_add_u32 v51, v16, 3, 0
	;; [unrolled: 1-line block ×4, first 2 shown]
	v_add_nc_u32_e32 v47, 0x400, v10
	v_add_nc_u32_e32 v50, 0xc00, v10
	;; [unrolled: 1-line block ×5, first 2 shown]
	ds_read2_b32 v[17:18], v47 offset0:192 offset1:248
	ds_read2_b32 v[19:20], v50 offset0:128 offset1:184
	;; [unrolled: 1-line block ×8, first 2 shown]
	ds_read2_b32 v[34:35], v10 offset1:56
	s_waitcnt lgkmcnt(0)
	s_barrier
	buffer_gl0_inv
	v_lshl_add_u32 v0, v11, 3, 0
	v_lshl_add_u32 v39, v13, 3, 0
	;; [unrolled: 1-line block ×4, first 2 shown]
	v_lshlrev_b32_e32 v52, 2, v5
	v_lshlrev_b32_e32 v53, 2, v16
	;; [unrolled: 1-line block ×5, first 2 shown]
	v_pk_add_f16 v20, v17, v20 neg_lo:[0,1] neg_hi:[0,1]
	v_pk_add_f16 v19, v22, v19 neg_lo:[0,1] neg_hi:[0,1]
	;; [unrolled: 1-line block ×9, first 2 shown]
	v_pk_fma_f16 v17, v17, 2.0, v20 op_sel_hi:[1,0,1] neg_lo:[0,0,1] neg_hi:[0,0,1]
	v_pk_fma_f16 v31, v31, 2.0, v28 op_sel_hi:[1,0,1] neg_lo:[0,0,1] neg_hi:[0,0,1]
	;; [unrolled: 1-line block ×8, first 2 shown]
	ds_write2_b32 v6, v34, v18 offset1:1
	ds_write2_b32 v49, v35, v32 offset1:1
	;; [unrolled: 1-line block ×4, first 2 shown]
	v_and_b32_e32 v28, 1, v3
	v_pk_fma_f16 v22, v22, 2.0, v19 op_sel_hi:[1,0,1] neg_lo:[0,0,1] neg_hi:[0,0,1]
	ds_write2_b32 v40, v25, v29 offset1:1
	ds_write2_b32 v39, v26, v23 offset1:1
	;; [unrolled: 1-line block ×5, first 2 shown]
	v_lshlrev_b32_e32 v6, 2, v28
	s_waitcnt lgkmcnt(0)
	s_barrier
	buffer_gl0_inv
	v_lshlrev_b32_e32 v17, 1, v3
	global_load_dword v19, v6, s[12:13]
	v_lshlrev_b32_e32 v18, 1, v5
	v_lshlrev_b32_e32 v20, 1, v16
	;; [unrolled: 1-line block ×8, first 2 shown]
	v_and_or_b32 v35, 0x7c, v17, v28
	v_and_or_b32 v56, 0xfc, v18, v28
	;; [unrolled: 1-line block ×9, first 2 shown]
	v_add_nc_u32_e32 v28, 0x600, v10
	v_lshl_add_u32 v66, v56, 2, 0
	v_lshl_add_u32 v67, v57, 2, 0
	;; [unrolled: 1-line block ×4, first 2 shown]
	ds_read2_b32 v[56:57], v28 offset0:120 offset1:176
	ds_read2_b32 v[58:59], v48 offset0:104 offset1:160
	v_lshlrev_b32_e32 v6, 2, v15
	v_lshlrev_b32_e32 v45, 2, v9
	;; [unrolled: 1-line block ×3, first 2 shown]
	v_lshl_add_u32 v65, v35, 2, 0
	v_add_nc_u32_e32 v35, 0xa00, v10
	v_sub_nc_u32_e32 v30, v51, v53
	v_sub_nc_u32_e32 v32, v41, v6
	;; [unrolled: 1-line block ×8, first 2 shown]
	v_lshl_add_u32 v70, v60, 2, 0
	v_lshl_add_u32 v71, v61, 2, 0
	;; [unrolled: 1-line block ×4, first 2 shown]
	ds_read2_b32 v[60:61], v35 offset0:88 offset1:144
	ds_read_b32 v74, v10
	ds_read_u16 v75, v10 offset:3362
	ds_read2_b32 v[62:63], v50 offset0:72 offset1:128
	ds_read_b32 v76, v10 offset:3808
	ds_read_b32 v77, v32
	ds_read_b32 v78, v31
	;; [unrolled: 1-line block ×8, first 2 shown]
	v_and_b32_e32 v36, 3, v3
	s_waitcnt vmcnt(0) lgkmcnt(0)
	s_barrier
	buffer_gl0_inv
	v_cmp_gt_u32_e64 s0, 48, v3
	v_lshlrev_b32_e32 v64, 2, v36
	v_pk_mul_f16 v85, v19, v56 op_sel:[0,1]
	v_pk_mul_f16 v86, v19, v57 op_sel:[0,1]
	;; [unrolled: 1-line block ×6, first 2 shown]
	v_pk_mul_f16 v75, v75, v19 op_sel_hi:[0,1]
	v_pk_mul_f16 v91, v63, v19 op_sel:[0,1]
	v_pk_mul_f16 v92, v76, v19 op_sel:[0,1]
	v_pk_fma_f16 v93, v19, v56, v85 op_sel:[0,0,1] op_sel_hi:[1,1,0] neg_lo:[0,0,1] neg_hi:[0,0,1]
	v_pk_fma_f16 v56, v19, v56, v85 op_sel:[0,0,1] op_sel_hi:[1,0,0]
	v_pk_fma_f16 v85, v19, v57, v86 op_sel:[0,0,1] op_sel_hi:[1,1,0] neg_lo:[0,0,1] neg_hi:[0,0,1]
	v_pk_fma_f16 v57, v19, v57, v86 op_sel:[0,0,1] op_sel_hi:[1,0,0]
	;; [unrolled: 2-line block ×9, first 2 shown]
	v_bfi_b32 v56, 0xffff, v93, v56
	v_bfi_b32 v57, 0xffff, v85, v57
	;; [unrolled: 1-line block ×9, first 2 shown]
	v_pk_add_f16 v56, v74, v56 neg_lo:[0,1] neg_hi:[0,1]
	v_pk_add_f16 v57, v81, v57 neg_lo:[0,1] neg_hi:[0,1]
	;; [unrolled: 1-line block ×9, first 2 shown]
	v_pk_fma_f16 v74, v74, 2.0, v56 op_sel_hi:[1,0,1] neg_lo:[0,0,1] neg_hi:[0,0,1]
	v_pk_fma_f16 v75, v81, 2.0, v57 op_sel_hi:[1,0,1] neg_lo:[0,0,1] neg_hi:[0,0,1]
	;; [unrolled: 1-line block ×9, first 2 shown]
	ds_write2_b32 v65, v74, v56 offset1:2
	ds_write2_b32 v66, v75, v57 offset1:2
	;; [unrolled: 1-line block ×9, first 2 shown]
	s_waitcnt lgkmcnt(0)
	s_barrier
	buffer_gl0_inv
	global_load_dword v19, v64, s[12:13] offset:8
	v_and_or_b32 v56, 0x78, v17, v36
	v_and_or_b32 v57, 0xf8, v18, v36
	;; [unrolled: 1-line block ×6, first 2 shown]
	v_lshl_add_u32 v66, v56, 2, 0
	v_lshl_add_u32 v67, v57, 2, 0
	ds_read2_b32 v[56:57], v28 offset0:120 offset1:176
	v_lshl_add_u32 v68, v58, 2, 0
	v_lshl_add_u32 v69, v59, 2, 0
	ds_read2_b32 v[58:59], v48 offset0:104 offset1:160
	;; [unrolled: 3-line block ×3, first 2 shown]
	v_and_or_b32 v62, 0x3f8, v24, v36
	v_and_or_b32 v63, 0x3f8, v25, v36
	v_and_b32_e32 v64, 7, v3
	v_and_or_b32 v36, 0x3f8, v26, v36
	v_lshl_add_u32 v72, v62, 2, 0
	v_lshl_add_u32 v73, v63, 2, 0
	ds_read2_b32 v[62:63], v50 offset0:72 offset1:128
	ds_read_b32 v74, v10
	ds_read_b32 v75, v10 offset:3808
	ds_read_b32 v76, v32
	ds_read_b32 v77, v31
	;; [unrolled: 1-line block ×8, first 2 shown]
	v_lshlrev_b32_e32 v65, 2, v64
	v_lshl_add_u32 v36, v36, 2, 0
	s_waitcnt vmcnt(0) lgkmcnt(0)
	s_barrier
	buffer_gl0_inv
	v_and_or_b32 v17, 0x70, v17, v64
	v_and_or_b32 v18, 0xf0, v18, v64
	;; [unrolled: 1-line block ×9, first 2 shown]
	v_lshl_add_u32 v64, v24, 2, 0
	v_lshl_add_u32 v26, v26, 2, 0
	v_pk_mul_f16 v84, v19, v56 op_sel:[0,1]
	v_pk_mul_f16 v85, v19, v57 op_sel:[0,1]
	;; [unrolled: 1-line block ×9, first 2 shown]
	v_pk_fma_f16 v93, v19, v56, v84 op_sel:[0,0,1] op_sel_hi:[1,1,0] neg_lo:[0,0,1] neg_hi:[0,0,1]
	v_pk_fma_f16 v56, v19, v56, v84 op_sel:[0,0,1] op_sel_hi:[1,0,0]
	v_pk_fma_f16 v84, v19, v57, v85 op_sel:[0,0,1] op_sel_hi:[1,1,0] neg_lo:[0,0,1] neg_hi:[0,0,1]
	v_pk_fma_f16 v57, v19, v57, v85 op_sel:[0,0,1] op_sel_hi:[1,0,0]
	;; [unrolled: 2-line block ×9, first 2 shown]
	v_bfi_b32 v56, 0xffff, v93, v56
	v_bfi_b32 v57, 0xffff, v84, v57
	;; [unrolled: 1-line block ×9, first 2 shown]
	v_pk_add_f16 v56, v74, v56 neg_lo:[0,1] neg_hi:[0,1]
	v_pk_add_f16 v57, v81, v57 neg_lo:[0,1] neg_hi:[0,1]
	;; [unrolled: 1-line block ×9, first 2 shown]
	v_pk_fma_f16 v74, v74, 2.0, v56 op_sel_hi:[1,0,1] neg_lo:[0,0,1] neg_hi:[0,0,1]
	v_pk_fma_f16 v75, v81, 2.0, v57 op_sel_hi:[1,0,1] neg_lo:[0,0,1] neg_hi:[0,0,1]
	;; [unrolled: 1-line block ×9, first 2 shown]
	ds_write2_b32 v66, v74, v56 offset1:4
	ds_write2_b32 v67, v75, v57 offset1:4
	;; [unrolled: 1-line block ×9, first 2 shown]
	s_waitcnt lgkmcnt(0)
	s_barrier
	buffer_gl0_inv
	global_load_dword v56, v65, s[12:13] offset:24
	v_lshl_add_u32 v58, v17, 2, 0
	v_lshl_add_u32 v59, v18, 2, 0
	ds_read2_b32 v[17:18], v28 offset0:120 offset1:176
	v_lshl_add_u32 v60, v20, 2, 0
	v_lshl_add_u32 v61, v21, 2, 0
	ds_read2_b32 v[20:21], v48 offset0:104 offset1:160
	;; [unrolled: 3-line block ×3, first 2 shown]
	v_lshl_add_u32 v65, v25, 2, 0
	ds_read2_b32 v[24:25], v50 offset0:72 offset1:128
	ds_read_b32 v66, v10
	ds_read_b32 v67, v10 offset:3808
	ds_read_b32 v68, v32
	ds_read_b32 v69, v31
	;; [unrolled: 1-line block ×8, first 2 shown]
	v_and_b32_e32 v19, 15, v5
	v_and_b32_e32 v36, 15, v15
	s_waitcnt vmcnt(0) lgkmcnt(0)
	s_barrier
	buffer_gl0_inv
	v_lshlrev_b32_e32 v57, 3, v19
	v_pk_mul_f16 v74, v56, v17 op_sel:[0,1]
	v_pk_mul_f16 v75, v56, v18 op_sel:[0,1]
	v_pk_mul_f16 v76, v56, v20 op_sel:[0,1]
	v_pk_mul_f16 v77, v56, v21 op_sel:[0,1]
	v_pk_mul_f16 v78, v56, v22 op_sel:[0,1]
	v_pk_mul_f16 v79, v56, v23 op_sel:[0,1]
	v_pk_mul_f16 v80, v56, v24 op_sel:[0,1]
	v_pk_mul_f16 v81, v25, v56 op_sel:[0,1]
	v_pk_mul_f16 v82, v67, v56 op_sel:[0,1]
	v_pk_fma_f16 v83, v56, v17, v74 op_sel:[0,0,1] op_sel_hi:[1,1,0] neg_lo:[0,0,1] neg_hi:[0,0,1]
	v_pk_fma_f16 v17, v56, v17, v74 op_sel:[0,0,1] op_sel_hi:[1,0,0]
	v_pk_fma_f16 v74, v56, v18, v75 op_sel:[0,0,1] op_sel_hi:[1,1,0] neg_lo:[0,0,1] neg_hi:[0,0,1]
	v_pk_fma_f16 v18, v56, v18, v75 op_sel:[0,0,1] op_sel_hi:[1,0,0]
	;; [unrolled: 2-line block ×9, first 2 shown]
	v_bfi_b32 v17, 0xffff, v83, v17
	v_bfi_b32 v18, 0xffff, v74, v18
	;; [unrolled: 1-line block ×9, first 2 shown]
	v_pk_add_f16 v17, v66, v17 neg_lo:[0,1] neg_hi:[0,1]
	v_pk_add_f16 v18, v73, v18 neg_lo:[0,1] neg_hi:[0,1]
	;; [unrolled: 1-line block ×9, first 2 shown]
	v_pk_fma_f16 v66, v66, 2.0, v17 op_sel_hi:[1,0,1] neg_lo:[0,0,1] neg_hi:[0,0,1]
	v_pk_fma_f16 v67, v73, 2.0, v18 op_sel_hi:[1,0,1] neg_lo:[0,0,1] neg_hi:[0,0,1]
	v_pk_fma_f16 v72, v72, 2.0, v20 op_sel_hi:[1,0,1] neg_lo:[0,0,1] neg_hi:[0,0,1]
	v_pk_fma_f16 v68, v68, 2.0, v21 op_sel_hi:[1,0,1] neg_lo:[0,0,1] neg_hi:[0,0,1]
	v_pk_fma_f16 v69, v69, 2.0, v22 op_sel_hi:[1,0,1] neg_lo:[0,0,1] neg_hi:[0,0,1]
	v_pk_fma_f16 v54, v54, 2.0, v25 op_sel_hi:[1,0,1] neg_lo:[0,0,1] neg_hi:[0,0,1]
	v_pk_fma_f16 v70, v70, 2.0, v23 op_sel_hi:[1,0,1] neg_lo:[0,0,1] neg_hi:[0,0,1]
	v_pk_fma_f16 v71, v71, 2.0, v24 op_sel_hi:[1,0,1] neg_lo:[0,0,1] neg_hi:[0,0,1]
	v_pk_fma_f16 v55, v55, 2.0, v56 op_sel_hi:[1,0,1] neg_lo:[0,0,1] neg_hi:[0,0,1]
	ds_write2_b32 v58, v66, v17 offset1:8
	ds_write2_b32 v59, v67, v18 offset1:8
	;; [unrolled: 1-line block ×9, first 2 shown]
	s_waitcnt lgkmcnt(0)
	s_barrier
	buffer_gl0_inv
	global_load_dwordx2 v[17:18], v57, s[12:13] offset:56
	v_lshlrev_b32_e32 v20, 3, v36
	v_and_b32_e32 v54, 15, v13
	v_and_b32_e32 v55, 15, v3
	v_lshrrev_b32_e32 v56, 4, v3
	v_and_b32_e32 v62, 0xff, v5
	global_load_dwordx2 v[25:26], v20, s[12:13] offset:56
	v_lshlrev_b32_e32 v20, 3, v54
	v_lshlrev_b32_e32 v23, 3, v55
	s_clause 0x1
	global_load_dwordx2 v[21:22], v20, s[12:13] offset:56
	global_load_dwordx2 v[23:24], v23, s[12:13] offset:56
	v_and_b32_e32 v63, 0xff, v16
	v_lshrrev_b32_e32 v57, 4, v5
	v_lshrrev_b32_e32 v58, 4, v16
	;; [unrolled: 1-line block ×4, first 2 shown]
	v_mul_u32_u24_e32 v56, 48, v56
	v_mul_lo_u16 v62, 0xab, v62
	v_mul_lo_u16 v63, 0xab, v63
	v_lshrrev_b32_e32 v59, 4, v15
	v_mul_lo_u32 v57, v57, 48
	v_mul_lo_u32 v58, v58, 48
	;; [unrolled: 1-line block ×4, first 2 shown]
	v_or_b32_e32 v56, v56, v55
	v_lshrrev_b16 v69, 13, v62
	v_lshrrev_b16 v70, 13, v63
	v_mul_lo_u32 v59, v59, 48
	v_and_b32_e32 v65, 0xff, v15
	v_or_b32_e32 v19, v57, v19
	v_or_b32_e32 v57, v58, v55
	;; [unrolled: 1-line block ×4, first 2 shown]
	v_lshl_add_u32 v71, v56, 2, 0
	v_mul_lo_u16 v54, v69, 48
	v_mul_lo_u16 v56, v70, 48
	;; [unrolled: 1-line block ×3, first 2 shown]
	v_or_b32_e32 v36, v59, v36
	v_lshl_add_u32 v73, v57, 2, 0
	v_lshl_add_u32 v74, v55, 2, 0
	v_sub_nc_u16 v75, v5, v54
	v_sub_nc_u16 v76, v16, v56
	ds_read2_b32 v[54:55], v47 offset0:136 offset1:192
	ds_read2_b32 v[56:57], v35 offset0:88 offset1:144
	;; [unrolled: 1-line block ×4, first 2 shown]
	v_lshrrev_b16 v65, 13, v65
	v_lshl_add_u32 v77, v62, 2, 0
	v_mov_b32_e32 v66, 0xaaab
	v_subrev_nc_u32_e32 v67, 48, v3
	v_lshl_add_u32 v19, v19, 2, 0
	v_mul_lo_u16 v63, v65, 48
	v_lshl_add_u32 v36, v36, 2, 0
	v_mul_u32_u24_sdwa v68, v14, v66 dst_sel:DWORD dst_unused:UNUSED_PAD src0_sel:WORD_0 src1_sel:DWORD
	v_mov_b32_e32 v64, 3
	v_cndmask_b32_e64 v67, v67, v3, s0
	v_sub_nc_u16 v78, v15, v63
	ds_read_b32 v81, v34
	ds_read_b32 v82, v32
	;; [unrolled: 1-line block ×4, first 2 shown]
	ds_read_b32 v85, v10 offset:3808
	ds_read2_b32 v[62:63], v48 offset0:104 offset1:160
	ds_read_b32 v86, v30
	ds_read_b32 v87, v29
	ds_read_u16 v88, v10 offset:1794
	ds_read_b32 v89, v10
	v_lshrrev_b32_e32 v68, 21, v68
	s_waitcnt vmcnt(0) lgkmcnt(0)
	s_barrier
	buffer_gl0_inv
	v_lshrrev_b32_e32 v90, 16, v54
	v_lshrrev_b32_e32 v91, 16, v56
	;; [unrolled: 1-line block ×8, first 2 shown]
	v_mul_lo_u16 v72, v68, 48
	v_mul_u32_u24_sdwa v66, v13, v66 dst_sel:DWORD dst_unused:UNUSED_PAD src0_sel:WORD_0 src1_sel:DWORD
	v_mov_b32_e32 v20, 0
	v_lshlrev_b32_sdwa v80, v64, v76 dst_sel:DWORD dst_unused:UNUSED_PAD src0_sel:DWORD src1_sel:BYTE_0
	v_lshlrev_b32_sdwa v79, v64, v75 dst_sel:DWORD dst_unused:UNUSED_PAD src0_sel:DWORD src1_sel:BYTE_0
	v_mul_f16_sdwa v97, v17, v54 dst_sel:DWORD dst_unused:UNUSED_PAD src0_sel:WORD_1 src1_sel:DWORD
	v_mul_f16_sdwa v99, v18, v56 dst_sel:DWORD dst_unused:UNUSED_PAD src0_sel:WORD_1 src1_sel:DWORD
	;; [unrolled: 1-line block ×4, first 2 shown]
	v_fmac_f16_e32 v97, v17, v90
	v_mul_f16_sdwa v90, v58, v25 dst_sel:DWORD dst_unused:UNUSED_PAD src0_sel:DWORD src1_sel:WORD_1
	v_fmac_f16_e32 v99, v18, v91
	v_mul_f16_sdwa v91, v60, v26 dst_sel:DWORD dst_unused:UNUSED_PAD src0_sel:DWORD src1_sel:WORD_1
	v_fma_f16 v17, v17, v54, -v100
	v_mul_f16_sdwa v54, v92, v25 dst_sel:DWORD dst_unused:UNUSED_PAD src0_sel:DWORD src1_sel:WORD_1
	v_fma_f16 v18, v18, v56, -v101
	v_mul_f16_sdwa v56, v93, v26 dst_sel:DWORD dst_unused:UNUSED_PAD src0_sel:DWORD src1_sel:WORD_1
	v_fmac_f16_e32 v90, v92, v25
	v_fmac_f16_e32 v91, v93, v26
	v_mul_f16_sdwa v93, v88, v23 dst_sel:DWORD dst_unused:UNUSED_PAD src0_sel:DWORD src1_sel:WORD_1
	v_fma_f16 v25, v58, v25, -v54
	v_mul_f16_sdwa v54, v94, v24 dst_sel:DWORD dst_unused:UNUSED_PAD src0_sel:DWORD src1_sel:WORD_1
	v_mul_f16_sdwa v58, v95, v23 dst_sel:DWORD dst_unused:UNUSED_PAD src0_sel:DWORD src1_sel:WORD_1
	v_lshrrev_b32_e32 v92, 16, v63
	v_fma_f16 v26, v60, v26, -v56
	v_mul_f16_sdwa v56, v23, v55 dst_sel:DWORD dst_unused:UNUSED_PAD src0_sel:WORD_1 src1_sel:DWORD
	v_fma_f16 v55, v23, v55, -v93
	v_mul_f16_sdwa v60, v57, v24 dst_sel:DWORD dst_unused:UNUSED_PAD src0_sel:DWORD src1_sel:WORD_1
	v_fma_f16 v54, v57, v24, -v54
	v_mul_f16_sdwa v57, v96, v24 dst_sel:DWORD dst_unused:UNUSED_PAD src0_sel:DWORD src1_sel:WORD_1
	v_mul_f16_sdwa v93, v59, v23 dst_sel:DWORD dst_unused:UNUSED_PAD src0_sel:DWORD src1_sel:WORD_1
	v_fma_f16 v58, v59, v23, -v58
	v_mul_f16_sdwa v59, v23, v98 dst_sel:DWORD dst_unused:UNUSED_PAD src0_sel:WORD_1 src1_sel:DWORD
	v_mul_f16_sdwa v100, v23, v81 dst_sel:DWORD dst_unused:UNUSED_PAD src0_sel:WORD_1 src1_sel:DWORD
	v_lshrrev_b32_e32 v101, 16, v62
	v_fma_f16 v57, v61, v24, -v57
	v_mul_f16_sdwa v61, v61, v24 dst_sel:DWORD dst_unused:UNUSED_PAD src0_sel:DWORD src1_sel:WORD_1
	v_fma_f16 v59, v23, v81, -v59
	v_lshrrev_b32_e32 v81, 16, v85
	v_fmac_f16_e32 v100, v23, v98
	v_fmac_f16_e32 v56, v88, v23
	;; [unrolled: 1-line block ×3, first 2 shown]
	v_mul_f16_sdwa v94, v24, v63 dst_sel:DWORD dst_unused:UNUSED_PAD src0_sel:WORD_1 src1_sel:DWORD
	v_fmac_f16_e32 v93, v95, v23
	v_mul_f16_sdwa v23, v24, v92 dst_sel:DWORD dst_unused:UNUSED_PAD src0_sel:WORD_1 src1_sel:DWORD
	v_mul_f16_sdwa v95, v101, v21 dst_sel:DWORD dst_unused:UNUSED_PAD src0_sel:DWORD src1_sel:WORD_1
	v_lshrrev_b32_e32 v98, 16, v89
	v_fmac_f16_e32 v61, v96, v24
	v_fmac_f16_e32 v94, v24, v92
	v_fma_f16 v23, v24, v63, -v23
	v_mul_f16_sdwa v24, v62, v21 dst_sel:DWORD dst_unused:UNUSED_PAD src0_sel:DWORD src1_sel:WORD_1
	v_mul_f16_sdwa v63, v81, v22 dst_sel:DWORD dst_unused:UNUSED_PAD src0_sel:DWORD src1_sel:WORD_1
	v_fma_f16 v62, v62, v21, -v95
	v_mul_f16_sdwa v95, v85, v22 dst_sel:DWORD dst_unused:UNUSED_PAD src0_sel:DWORD src1_sel:WORD_1
	v_lshrrev_b32_e32 v88, 16, v87
	v_fmac_f16_e32 v24, v101, v21
	v_fma_f16 v63, v85, v22, -v63
	v_add_f16_e32 v85, v59, v23
	v_fmac_f16_e32 v95, v81, v22
	v_add_f16_e32 v22, v89, v59
	v_add_f16_e32 v101, v98, v100
	v_sub_f16_e32 v59, v59, v23
	v_fmac_f16_e32 v89, -0.5, v85
	v_add_f16_e32 v85, v17, v18
	v_add_f16_e32 v22, v22, v23
	;; [unrolled: 1-line block ×3, first 2 shown]
	v_sub_f16_e32 v100, v100, v94
	v_add_f16_e32 v94, v101, v94
	v_add_f16_e32 v101, v87, v17
	v_lshrrev_b32_e32 v92, 16, v86
	v_sub_f16_e32 v17, v17, v18
	v_fmac_f16_e32 v98, -0.5, v23
	v_add_f16_e32 v23, v88, v97
	v_add_f16_e32 v18, v101, v18
	;; [unrolled: 1-line block ×3, first 2 shown]
	v_fmac_f16_e32 v87, -0.5, v85
	v_add_f16_e32 v85, v86, v55
	v_lshrrev_b32_e32 v96, 16, v82
	v_sub_f16_e32 v97, v97, v99
	v_add_f16_e32 v23, v23, v99
	v_add_f16_e32 v99, v55, v54
	v_fmac_f16_e32 v88, -0.5, v101
	v_add_f16_e32 v101, v92, v56
	v_sub_f16_e32 v55, v55, v54
	v_add_f16_e32 v54, v85, v54
	v_add_f16_e32 v85, v56, v60
	v_sub_f16_e32 v56, v56, v60
	v_add_f16_e32 v60, v101, v60
	v_add_f16_e32 v101, v82, v25
	v_fmac_f16_e32 v86, -0.5, v99
	v_fmac_f16_e32 v92, -0.5, v85
	v_add_f16_e32 v85, v96, v90
	v_add_f16_e32 v99, v25, v26
	v_lshrrev_b32_e32 v21, 16, v83
	v_sub_f16_e32 v25, v25, v26
	v_add_f16_e32 v26, v101, v26
	v_add_f16_e32 v101, v90, v91
	v_sub_f16_e32 v90, v90, v91
	v_add_f16_e32 v85, v85, v91
	v_add_f16_e32 v91, v58, v57
	v_fmac_f16_e32 v82, -0.5, v99
	v_add_f16_e32 v99, v83, v58
	v_fmac_f16_e32 v96, -0.5, v101
	;; [unrolled: 2-line block ×3, first 2 shown]
	v_add_f16_e32 v91, v84, v62
	v_lshrrev_b32_e32 v81, 16, v84
	v_sub_f16_e32 v58, v58, v57
	v_add_f16_e32 v57, v99, v57
	v_add_f16_e32 v99, v93, v61
	v_sub_f16_e32 v93, v93, v61
	v_add_f16_e32 v61, v101, v61
	v_add_f16_e32 v101, v62, v63
	;; [unrolled: 3-line block ×3, first 2 shown]
	v_fmac_f16_e32 v21, -0.5, v99
	v_add_f16_e32 v99, v81, v24
	v_sub_f16_e32 v24, v24, v95
	v_fmac_f16_e32 v84, -0.5, v101
	v_fmac_f16_e32 v81, -0.5, v91
	v_pack_b32_f16 v22, v22, v94
	v_fmamk_f16 v91, v100, 0x3aee, v89
	v_fmamk_f16 v94, v59, 0xbaee, v98
	v_add_f16_e32 v95, v99, v95
	v_fmac_f16_e32 v89, 0xbaee, v100
	v_fmac_f16_e32 v98, 0x3aee, v59
	v_pack_b32_f16 v18, v18, v23
	v_fmamk_f16 v23, v97, 0x3aee, v87
	v_fmamk_f16 v59, v17, 0xbaee, v88
	v_fmac_f16_e32 v87, 0xbaee, v97
	v_fmac_f16_e32 v88, 0x3aee, v17
	v_pack_b32_f16 v17, v54, v60
	v_fmamk_f16 v54, v56, 0x3aee, v86
	v_fmamk_f16 v60, v55, 0xbaee, v92
	;; [unrolled: 5-line block ×3, first 2 shown]
	v_fmac_f16_e32 v82, 0xbaee, v90
	v_fmac_f16_e32 v96, 0x3aee, v25
	v_fmamk_f16 v25, v93, 0x3aee, v83
	v_fmac_f16_e32 v83, 0xbaee, v93
	v_fmamk_f16 v85, v58, 0xbaee, v21
	;; [unrolled: 2-line block ×4, first 2 shown]
	v_fmac_f16_e32 v81, 0x3aee, v62
	v_pack_b32_f16 v62, v91, v94
	v_pack_b32_f16 v57, v57, v61
	;; [unrolled: 1-line block ×14, first 2 shown]
	ds_write2_b32 v71, v22, v62 offset1:16
	ds_write_b32 v71, v63 offset:128
	ds_write2_b32 v19, v18, v23 offset1:16
	ds_write_b32 v19, v59 offset:128
	;; [unrolled: 2-line block ×6, first 2 shown]
	v_sub_nc_u16 v36, v14, v72
	v_lshlrev_b32_e32 v19, 1, v67
	v_lshlrev_b32_sdwa v17, v64, v78 dst_sel:DWORD dst_unused:UNUSED_PAD src0_sel:DWORD src1_sel:BYTE_0
	v_lshrrev_b32_e32 v54, 21, v66
	s_waitcnt lgkmcnt(0)
	v_lshlrev_b32_sdwa v55, v64, v36 dst_sel:DWORD dst_unused:UNUSED_PAD src0_sel:DWORD src1_sel:WORD_0
	s_barrier
	buffer_gl0_inv
	s_clause 0x2
	global_load_dwordx2 v[23:24], v80, s[12:13] offset:184
	global_load_dwordx2 v[25:26], v17, s[12:13] offset:184
	;; [unrolled: 1-line block ×3, first 2 shown]
	v_lshlrev_b64 v[17:18], 2, v[19:20]
	v_mul_lo_u16 v19, v54, 48
	global_load_dwordx2 v[21:22], v79, s[12:13] offset:184
	v_lshlrev_b32_e32 v56, 2, v67
	v_mov_b32_e32 v61, 0x240
	v_mov_b32_e32 v62, 2
	v_add_co_u32 v17, s0, s12, v17
	v_add_co_ci_u32_e64 v18, s0, s13, v18, s0
	v_sub_nc_u16 v55, v13, v19
	v_cmp_lt_u32_e64 s0, 47, v3
	v_mul_u32_u24_e32 v72, 0x240, v54
	global_load_dwordx2 v[18:19], v[17:18], off offset:184
	v_lshlrev_b32_sdwa v54, v62, v75 dst_sel:DWORD dst_unused:UNUSED_PAD src0_sel:DWORD src1_sel:BYTE_0
	v_lshlrev_b32_sdwa v17, v64, v55 dst_sel:DWORD dst_unused:UNUSED_PAD src0_sel:DWORD src1_sel:WORD_0
	v_lshlrev_b32_sdwa v73, v62, v76 dst_sel:DWORD dst_unused:UNUSED_PAD src0_sel:DWORD src1_sel:BYTE_0
	v_lshlrev_b32_sdwa v74, v62, v78 dst_sel:DWORD dst_unused:UNUSED_PAD src0_sel:DWORD src1_sel:BYTE_0
	v_lshlrev_b32_sdwa v75, v62, v36 dst_sel:DWORD dst_unused:UNUSED_PAD src0_sel:DWORD src1_sel:WORD_0
	v_lshlrev_b32_sdwa v55, v62, v55 dst_sel:DWORD dst_unused:UNUSED_PAD src0_sel:DWORD src1_sel:WORD_0
	global_load_dwordx2 v[59:60], v17, s[12:13] offset:184
	v_cndmask_b32_e64 v17, 0, 0x240, s0
	v_cmp_gt_u32_e64 s0, 32, v3
	v_add3_u32 v72, 0, v72, v55
	v_add3_u32 v71, 0, v17, v56
	v_mul_u32_u24_sdwa v17, v69, v61 dst_sel:DWORD dst_unused:UNUSED_PAD src0_sel:WORD_0 src1_sel:DWORD
	v_mul_u32_u24_sdwa v56, v70, v61 dst_sel:DWORD dst_unused:UNUSED_PAD src0_sel:WORD_0 src1_sel:DWORD
	;; [unrolled: 1-line block ×3, first 2 shown]
	v_mul_u32_u24_e32 v70, 0x240, v68
	v_add3_u32 v76, 0, v17, v54
	ds_read2_b32 v[61:62], v47 offset0:136 offset1:192
	ds_read2_b32 v[35:36], v35 offset0:88 offset1:144
	;; [unrolled: 1-line block ×5, first 2 shown]
	ds_read_b32 v32, v32
	ds_read_b32 v34, v34
	;; [unrolled: 1-line block ×6, first 2 shown]
	ds_read_b32 v33, v10 offset:3808
	ds_read_b32 v77, v10
	v_add3_u32 v69, 0, v69, v74
	v_add3_u32 v70, 0, v70, v75
	;; [unrolled: 1-line block ×3, first 2 shown]
	s_waitcnt vmcnt(0) lgkmcnt(0)
	s_barrier
	buffer_gl0_inv
	v_lshrrev_b32_e32 v78, 16, v62
	v_lshrrev_b32_e32 v75, 16, v35
	;; [unrolled: 1-line block ×18, first 2 shown]
	v_mul_f16_sdwa v96, v78, v23 dst_sel:DWORD dst_unused:UNUSED_PAD src0_sel:DWORD src1_sel:WORD_1
	v_mul_f16_sdwa v97, v62, v23 dst_sel:DWORD dst_unused:UNUSED_PAD src0_sel:DWORD src1_sel:WORD_1
	;; [unrolled: 1-line block ×5, first 2 shown]
	v_mul_f16_sdwa v94, v22, v35 dst_sel:DWORD dst_unused:UNUSED_PAD src0_sel:WORD_1 src1_sel:DWORD
	v_mul_f16_sdwa v95, v22, v75 dst_sel:DWORD dst_unused:UNUSED_PAD src0_sel:WORD_1 src1_sel:DWORD
	;; [unrolled: 1-line block ×4, first 2 shown]
	v_fma_f16 v62, v62, v23, -v96
	v_fmac_f16_e32 v94, v22, v75
	v_mul_f16_sdwa v75, v65, v26 dst_sel:DWORD dst_unused:UNUSED_PAD src0_sel:DWORD src1_sel:WORD_1
	v_fma_f16 v22, v22, v35, -v95
	v_mul_f16_sdwa v35, v81, v26 dst_sel:DWORD dst_unused:UNUSED_PAD src0_sel:DWORD src1_sel:WORD_1
	v_fma_f16 v36, v36, v24, -v98
	v_fmac_f16_e32 v97, v78, v23
	v_mul_f16_sdwa v98, v18, v84 dst_sel:DWORD dst_unused:UNUSED_PAD src0_sel:WORD_1 src1_sel:DWORD
	v_mul_f16_sdwa v23, v18, v34 dst_sel:DWORD dst_unused:UNUSED_PAD src0_sel:WORD_1 src1_sel:DWORD
	v_fmac_f16_e32 v99, v79, v24
	v_mul_f16_sdwa v24, v19, v68 dst_sel:DWORD dst_unused:UNUSED_PAD src0_sel:WORD_1 src1_sel:DWORD
	v_mul_f16_sdwa v78, v19, v85 dst_sel:DWORD dst_unused:UNUSED_PAD src0_sel:WORD_1 src1_sel:DWORD
	v_fmac_f16_e32 v92, v21, v74
	v_mul_f16_sdwa v74, v80, v25 dst_sel:DWORD dst_unused:UNUSED_PAD src0_sel:DWORD src1_sel:WORD_1
	v_fma_f16 v21, v21, v61, -v93
	v_mul_f16_sdwa v61, v82, v57 dst_sel:DWORD dst_unused:UNUSED_PAD src0_sel:DWORD src1_sel:WORD_1
	v_mul_f16_sdwa v93, v64, v57 dst_sel:DWORD dst_unused:UNUSED_PAD src0_sel:DWORD src1_sel:WORD_1
	;; [unrolled: 1-line block ×5, first 2 shown]
	v_fmac_f16_e32 v100, v80, v25
	v_mul_f16_sdwa v80, v67, v59 dst_sel:DWORD dst_unused:UNUSED_PAD src0_sel:DWORD src1_sel:WORD_1
	v_fmac_f16_e32 v75, v81, v26
	v_mul_f16_sdwa v81, v87, v60 dst_sel:DWORD dst_unused:UNUSED_PAD src0_sel:DWORD src1_sel:WORD_1
	v_fma_f16 v26, v65, v26, -v35
	v_mul_f16_sdwa v35, v33, v60 dst_sel:DWORD dst_unused:UNUSED_PAD src0_sel:DWORD src1_sel:WORD_1
	v_fma_f16 v34, v18, v34, -v98
	v_fmac_f16_e32 v23, v18, v84
	v_fmac_f16_e32 v24, v19, v85
	v_fma_f16 v18, v19, v68, -v78
	v_fma_f16 v25, v63, v25, -v74
	;; [unrolled: 1-line block ×4, first 2 shown]
	v_fmac_f16_e32 v93, v82, v57
	v_fmac_f16_e32 v96, v83, v58
	v_fma_f16 v19, v67, v59, -v79
	v_fmac_f16_e32 v80, v86, v59
	v_fma_f16 v33, v33, v60, -v81
	v_fmac_f16_e32 v35, v87, v60
	v_add_f16_e32 v57, v77, v34
	v_add_f16_e32 v58, v34, v18
	;; [unrolled: 1-line block ×7, first 2 shown]
	v_sub_f16_e32 v66, v21, v22
	v_add_f16_e32 v21, v89, v92
	v_add_f16_e32 v74, v30, v62
	;; [unrolled: 1-line block ×11, first 2 shown]
	v_sub_f16_e32 v34, v34, v18
	v_sub_f16_e32 v23, v23, v24
	;; [unrolled: 1-line block ×3, first 2 shown]
	v_add_f16_e32 v100, v19, v33
	v_add_f16_e32 v18, v57, v18
	;; [unrolled: 1-line block ×3, first 2 shown]
	v_fmac_f16_e32 v77, -0.5, v58
	v_add_f16_e32 v24, v59, v24
	v_add_f16_e32 v58, v80, v35
	v_fmac_f16_e32 v88, -0.5, v60
	v_sub_f16_e32 v68, v92, v94
	v_add_f16_e32 v57, v56, v80
	v_fmac_f16_e32 v31, -0.5, v65
	v_fmac_f16_e32 v89, -0.5, v67
	v_sub_f16_e32 v62, v62, v36
	v_sub_f16_e32 v82, v97, v99
	;; [unrolled: 1-line block ×3, first 2 shown]
	v_add_f16_e32 v92, v54, v61
	v_sub_f16_e32 v61, v61, v63
	v_add_f16_e32 v97, v55, v93
	v_sub_f16_e32 v93, v93, v96
	v_add_f16_e32 v22, v64, v22
	v_add_f16_e32 v60, v21, v94
	;; [unrolled: 1-line block ×3, first 2 shown]
	v_fmac_f16_e32 v30, -0.5, v78
	v_add_f16_e32 v64, v79, v99
	v_fmac_f16_e32 v90, -0.5, v81
	v_add_f16_e32 v26, v83, v26
	;; [unrolled: 2-line block ×3, first 2 shown]
	v_fmac_f16_e32 v91, -0.5, v86
	v_fmac_f16_e32 v54, -0.5, v95
	;; [unrolled: 1-line block ×3, first 2 shown]
	v_sub_f16_e32 v59, v80, v35
	v_sub_f16_e32 v19, v19, v33
	v_fmac_f16_e32 v17, -0.5, v100
	v_fmac_f16_e32 v56, -0.5, v58
	v_add_f16_e32 v21, v101, v33
	v_pack_b32_f16 v18, v18, v24
	v_fmamk_f16 v24, v23, 0x3aee, v77
	v_fmamk_f16 v33, v34, 0xbaee, v88
	v_fmac_f16_e32 v77, 0xbaee, v23
	v_fmac_f16_e32 v88, 0x3aee, v34
	v_add_f16_e32 v57, v57, v35
	v_fmamk_f16 v34, v68, 0x3aee, v31
	v_fmamk_f16 v35, v66, 0xbaee, v89
	v_fmac_f16_e32 v31, 0xbaee, v68
	v_fmac_f16_e32 v89, 0x3aee, v66
	v_pack_b32_f16 v23, v22, v60
	v_pack_b32_f16 v36, v36, v64
	v_fmamk_f16 v60, v82, 0x3aee, v30
	v_fmamk_f16 v64, v62, 0xbaee, v90
	v_fmac_f16_e32 v30, 0xbaee, v82
	v_fmac_f16_e32 v90, 0x3aee, v62
	v_pack_b32_f16 v26, v26, v65
	v_fmamk_f16 v62, v87, 0x3aee, v32
	v_fmamk_f16 v65, v25, 0xbaee, v91
	v_fmac_f16_e32 v32, 0xbaee, v87
	v_fmac_f16_e32 v91, 0x3aee, v25
	v_fmamk_f16 v25, v93, 0x3aee, v54
	v_fmac_f16_e32 v54, 0xbaee, v93
	v_fmamk_f16 v66, v61, 0xbaee, v55
	v_fmac_f16_e32 v55, 0x3aee, v61
	v_add_f16_e32 v63, v92, v63
	v_add_f16_e32 v67, v97, v96
	v_fmamk_f16 v22, v59, 0x3aee, v17
	v_fmac_f16_e32 v17, 0xbaee, v59
	v_fmamk_f16 v58, v19, 0xbaee, v56
	v_fmac_f16_e32 v56, 0x3aee, v19
	v_pack_b32_f16 v24, v24, v33
	v_pack_b32_f16 v33, v77, v88
	;; [unrolled: 1-line block ×14, first 2 shown]
	ds_write2_b32 v71, v18, v24 offset1:48
	ds_write_b32 v71, v33 offset:384
	ds_write2_b32 v76, v23, v34 offset1:48
	ds_write_b32 v76, v31 offset:384
	;; [unrolled: 2-line block ×6, first 2 shown]
	s_waitcnt lgkmcnt(0)
	s_barrier
	buffer_gl0_inv
	ds_read2_b32 v[25:26], v10 offset1:144
	ds_read2_b32 v[33:34], v27 offset0:72 offset1:160
	ds_read2_b32 v[27:28], v28 offset0:104 offset1:192
	ds_read_b32 v60, v29
	ds_read_b32 v61, v10 offset:3680
	ds_read2_b32 v[35:36], v47 offset0:88 offset1:176
	ds_read2_b32 v[31:32], v48 offset0:120 offset1:208
	;; [unrolled: 1-line block ×3, first 2 shown]
	v_sub_nc_u32_e32 v18, 0, v53
	v_sub_nc_u32_e32 v62, 0, v52
                                        ; implicit-def: $vgpr52
                                        ; implicit-def: $vgpr59
                                        ; implicit-def: $vgpr53
                                        ; implicit-def: $vgpr24
	v_add_nc_u32_e32 v51, v51, v18
	s_and_saveexec_b32 s1, s0
	s_cbranch_execz .LBB0_15
; %bb.14:
	ds_read_b32 v54, v51
	ds_read2_b32 v[21:22], v47 offset1:144
	ds_read2_b32 v[17:18], v48 offset0:32 offset1:176
	ds_read2_b32 v[23:24], v50 offset0:64 offset1:208
	s_waitcnt lgkmcnt(3)
	v_lshrrev_b32_e32 v55, 16, v54
	s_waitcnt lgkmcnt(2)
	v_lshrrev_b32_e32 v57, 16, v21
	v_lshrrev_b32_e32 v58, 16, v22
	s_waitcnt lgkmcnt(1)
	v_lshrrev_b32_e32 v56, 16, v17
	;; [unrolled: 3-line block ×3, first 2 shown]
	v_lshrrev_b32_e32 v59, 16, v24
.LBB0_15:
	s_or_b32 exec_lo, exec_lo, s1
	v_mul_u32_u24_e32 v19, 6, v3
	s_waitcnt lgkmcnt(0)
	v_lshrrev_b32_e32 v79, 16, v30
	v_lshrrev_b32_e32 v80, 16, v32
	;; [unrolled: 1-line block ×4, first 2 shown]
	v_lshlrev_b32_e32 v50, 2, v19
	v_mul_i32_i24_e32 v19, 6, v5
	v_lshrrev_b32_e32 v75, 16, v29
	v_lshrrev_b32_e32 v76, 16, v61
	;; [unrolled: 1-line block ×3, first 2 shown]
	s_clause 0x1
	global_load_dwordx4 v[63:66], v50, s[12:13] offset:568
	global_load_dwordx2 v[71:72], v50, s[12:13] offset:584
	v_lshlrev_b64 v[19:20], 2, v[19:20]
	v_lshrrev_b32_e32 v50, 16, v31
	v_lshrrev_b32_e32 v78, 16, v33
	v_add_co_u32 v19, s1, s12, v19
	v_add_co_ci_u32_e64 v20, s1, s13, v20, s1
	s_clause 0x1
	global_load_dwordx4 v[67:70], v[19:20], off offset:568
	global_load_dwordx2 v[73:74], v[19:20], off offset:584
	v_add_nc_u32_e32 v19, v49, v62
	v_lshrrev_b32_e32 v49, 16, v28
	v_lshrrev_b32_e32 v62, 16, v36
	;; [unrolled: 1-line block ×3, first 2 shown]
	s_waitcnt vmcnt(0)
	s_barrier
	buffer_gl0_inv
	v_add_nc_u32_e32 v83, 0x400, v19
	v_add_nc_u32_e32 v84, 0x800, v19
	v_mul_f16_sdwa v85, v63, v82 dst_sel:DWORD dst_unused:UNUSED_PAD src0_sel:WORD_1 src1_sel:DWORD
	v_mul_f16_sdwa v86, v63, v26 dst_sel:DWORD dst_unused:UNUSED_PAD src0_sel:WORD_1 src1_sel:DWORD
	;; [unrolled: 1-line block ×12, first 2 shown]
	v_fma_f16 v26, v63, v26, -v85
	v_fmac_f16_e32 v86, v63, v82
	v_fma_f16 v34, v64, v34, -v87
	v_fmac_f16_e32 v88, v64, v81
	v_fma_f16 v36, v65, v36, -v89
	v_fmac_f16_e32 v90, v65, v62
	v_fma_f16 v28, v66, v28, -v91
	v_fmac_f16_e32 v92, v66, v49
	v_fma_f16 v32, v71, v32, -v93
	v_fmac_f16_e32 v94, v71, v80
	v_fma_f16 v30, v72, v30, -v95
	v_fmac_f16_e32 v96, v72, v79
	v_mul_f16_sdwa v49, v67, v78 dst_sel:DWORD dst_unused:UNUSED_PAD src0_sel:WORD_1 src1_sel:DWORD
	v_mul_f16_sdwa v62, v67, v33 dst_sel:DWORD dst_unused:UNUSED_PAD src0_sel:WORD_1 src1_sel:DWORD
	;; [unrolled: 1-line block ×4, first 2 shown]
	v_mul_f16_sdwa v66, v27, v69 dst_sel:DWORD dst_unused:UNUSED_PAD src0_sel:DWORD src1_sel:WORD_1
	v_mul_f16_sdwa v71, v50, v70 dst_sel:DWORD dst_unused:UNUSED_PAD src0_sel:DWORD src1_sel:WORD_1
	;; [unrolled: 1-line block ×8, first 2 shown]
	v_add_f16_e32 v85, v26, v30
	v_add_f16_e32 v87, v86, v96
	v_sub_f16_e32 v26, v26, v30
	v_sub_f16_e32 v30, v86, v96
	v_add_f16_e32 v86, v34, v32
	v_add_f16_e32 v89, v88, v94
	v_sub_f16_e32 v32, v34, v32
	v_sub_f16_e32 v34, v88, v94
	;; [unrolled: 4-line block ×3, first 2 shown]
	v_fma_f16 v33, v67, v33, -v49
	v_fmac_f16_e32 v62, v67, v78
	v_fma_f16 v35, v68, v35, -v63
	v_fmac_f16_e32 v64, v68, v77
	v_fmac_f16_e32 v66, v20, v69
	v_fma_f16 v20, v31, v70, -v71
	v_fma_f16 v29, v29, v73, -v79
	v_fmac_f16_e32 v80, v75, v73
	v_fma_f16 v31, v61, v74, -v81
	v_fmac_f16_e32 v82, v76, v74
	;; [unrolled: 2-line block ×3, first 2 shown]
	v_add_f16_e32 v49, v86, v85
	v_add_f16_e32 v50, v89, v87
	v_sub_f16_e32 v65, v85, v88
	v_sub_f16_e32 v67, v87, v91
	v_sub_f16_e32 v68, v88, v86
	v_sub_f16_e32 v69, v91, v89
	v_add_f16_e32 v70, v28, v32
	v_add_f16_e32 v71, v36, v34
	v_sub_f16_e32 v73, v28, v32
	v_sub_f16_e32 v74, v36, v34
	;; [unrolled: 1-line block ×4, first 2 shown]
	v_add_f16_e32 v75, v33, v31
	v_add_f16_e32 v76, v62, v82
	v_sub_f16_e32 v31, v33, v31
	v_sub_f16_e32 v33, v62, v82
	v_add_f16_e32 v62, v35, v29
	v_add_f16_e32 v77, v64, v80
	v_sub_f16_e32 v61, v86, v85
	v_sub_f16_e32 v63, v89, v87
	;; [unrolled: 1-line block ×6, first 2 shown]
	v_add_f16_e32 v64, v27, v20
	v_add_f16_e32 v78, v66, v72
	v_sub_f16_e32 v20, v20, v27
	v_sub_f16_e32 v27, v72, v66
	v_add_f16_e32 v49, v88, v49
	v_add_f16_e32 v50, v91, v50
	;; [unrolled: 1-line block ×4, first 2 shown]
	v_mul_f16_e32 v65, 0x3a52, v65
	v_mul_f16_e32 v66, 0x3a52, v67
	;; [unrolled: 1-line block ×8, first 2 shown]
	v_add_f16_e32 v79, v62, v75
	v_add_f16_e32 v80, v77, v76
	v_sub_f16_e32 v81, v62, v75
	v_sub_f16_e32 v82, v77, v76
	;; [unrolled: 1-line block ×5, first 2 shown]
	v_add_f16_e32 v85, v20, v29
	v_add_f16_e32 v86, v27, v35
	v_sub_f16_e32 v87, v20, v29
	v_sub_f16_e32 v88, v27, v35
	;; [unrolled: 1-line block ×4, first 2 shown]
	v_add_f16_e32 v89, v25, v49
	v_add_f16_sdwa v25, v25, v50 dst_sel:DWORD dst_unused:UNUSED_PAD src0_sel:WORD_1 src1_sel:DWORD
	v_fmamk_f16 v68, v68, 0x2b26, v65
	v_fmamk_f16 v69, v69, 0x2b26, v66
	v_fma_f16 v67, v61, 0x39e0, -v67
	v_fma_f16 v70, v63, 0x39e0, -v70
	;; [unrolled: 1-line block ×4, first 2 shown]
	v_fmamk_f16 v65, v28, 0x3574, v71
	v_fmamk_f16 v66, v36, 0x3574, v72
	v_fma_f16 v32, v32, 0x3b00, -v71
	v_fma_f16 v34, v34, 0x3b00, -v72
	;; [unrolled: 1-line block ×4, first 2 shown]
	v_add_f16_e32 v64, v64, v79
	v_add_f16_e32 v71, v78, v80
	v_sub_f16_e32 v77, v78, v77
	v_sub_f16_e32 v20, v31, v20
	;; [unrolled: 1-line block ×3, first 2 shown]
	v_mul_f16_e32 v72, 0x3a52, v75
	v_mul_f16_e32 v73, 0x3a52, v76
	;; [unrolled: 1-line block ×7, first 2 shown]
	v_fmamk_f16 v49, v49, 0xbcab, v89
	v_fmamk_f16 v50, v50, 0xbcab, v25
	v_fmac_f16_e32 v65, 0x370e, v26
	v_fmac_f16_e32 v66, 0x370e, v30
	;; [unrolled: 1-line block ×6, first 2 shown]
	v_add_f16_e32 v26, v60, v64
	v_add_f16_sdwa v30, v60, v71 dst_sel:DWORD dst_unused:UNUSED_PAD src0_sel:WORD_1 src1_sel:DWORD
	v_mul_f16_e32 v75, 0x2b26, v77
	v_add_f16_e32 v31, v85, v31
	v_add_f16_e32 v33, v86, v33
	v_fmamk_f16 v60, v62, 0x2b26, v72
	v_fmamk_f16 v62, v77, 0x2b26, v73
	v_fma_f16 v74, v81, 0x39e0, -v74
	v_fma_f16 v72, v81, 0xb9e0, -v72
	v_fmamk_f16 v77, v20, 0x3574, v76
	v_fmamk_f16 v81, v27, 0x3574, v78
	v_fma_f16 v29, v29, 0x3b00, -v76
	v_fma_f16 v35, v35, 0x3b00, -v78
	;; [unrolled: 1-line block ×4, first 2 shown]
	v_add_f16_e32 v68, v68, v49
	v_add_f16_e32 v69, v69, v50
	;; [unrolled: 1-line block ×6, first 2 shown]
	v_fmamk_f16 v61, v64, 0xbcab, v26
	v_fmamk_f16 v63, v71, 0xbcab, v30
	v_fma_f16 v75, v82, 0x39e0, -v75
	v_fma_f16 v73, v82, 0xb9e0, -v73
	v_fmac_f16_e32 v77, 0x370e, v31
	v_fmac_f16_e32 v81, 0x370e, v33
	;; [unrolled: 1-line block ×6, first 2 shown]
	v_pack_b32_f16 v26, v26, v30
	v_add_f16_e32 v30, v66, v68
	v_sub_f16_e32 v31, v69, v65
	v_add_f16_e32 v33, v36, v49
	v_sub_f16_e32 v64, v50, v28
	v_sub_f16_e32 v71, v67, v34
	v_add_f16_e32 v76, v32, v70
	v_add_f16_e32 v34, v34, v67
	v_sub_f16_e32 v32, v70, v32
	v_sub_f16_e32 v36, v49, v36
	v_add_f16_e32 v28, v28, v50
	v_sub_f16_e32 v49, v68, v66
	v_add_f16_e32 v50, v65, v69
	v_add_f16_e32 v60, v60, v61
	;; [unrolled: 1-line block ×7, first 2 shown]
	v_pack_b32_f16 v25, v89, v25
	v_pack_b32_f16 v30, v30, v31
	;; [unrolled: 1-line block ×5, first 2 shown]
	v_add_f16_e32 v36, v81, v60
	v_sub_f16_e32 v49, v62, v77
	v_pack_b32_f16 v31, v33, v64
	v_pack_b32_f16 v33, v71, v76
	v_add_f16_e32 v50, v27, v61
	v_sub_f16_e32 v64, v63, v20
	v_sub_f16_e32 v67, v65, v35
	v_add_f16_e32 v68, v29, v66
	v_add_f16_e32 v35, v35, v65
	v_sub_f16_e32 v29, v66, v29
	v_sub_f16_e32 v27, v61, v27
	v_add_f16_e32 v20, v20, v63
	v_sub_f16_e32 v60, v60, v81
	v_add_f16_e32 v61, v77, v62
	ds_write2_b32 v10, v25, v30 offset1:144
	ds_write2_b32 v47, v31, v33 offset0:32 offset1:176
	ds_write2_b32 v48, v32, v28 offset0:64 offset1:208
	v_pack_b32_f16 v25, v36, v49
	v_pack_b32_f16 v28, v50, v64
	;; [unrolled: 1-line block ×6, first 2 shown]
	ds_write_b32 v10, v34 offset:3456
	ds_write2_b32 v19, v26, v25 offset1:144
	ds_write2_b32 v83, v28, v30 offset0:32 offset1:176
	ds_write2_b32 v84, v29, v20 offset0:64 offset1:208
	ds_write_b32 v19, v27 offset:3456
	s_and_saveexec_b32 s1, s0
	s_cbranch_execz .LBB0_17
; %bb.16:
	v_subrev_nc_u32_e32 v20, 32, v3
	v_mov_b32_e32 v26, 0
	v_add_nc_u32_e32 v31, 0x600, v10
	v_add_nc_u32_e32 v32, 0xa00, v10
	v_cndmask_b32_e64 v20, v20, v16, s0
	v_mul_i32_i24_e32 v25, 6, v20
	v_add_nc_u32_e32 v20, 0x100, v10
	v_lshlrev_b64 v[25:26], 2, v[25:26]
	v_add_co_u32 v29, s0, s12, v25
	v_add_co_ci_u32_e64 v30, s0, s13, v26, s0
	s_clause 0x1
	global_load_dwordx4 v[25:28], v[29:30], off offset:568
	global_load_dwordx2 v[29:30], v[29:30], off offset:584
	s_waitcnt vmcnt(1)
	v_mul_f16_sdwa v33, v57, v25 dst_sel:DWORD dst_unused:UNUSED_PAD src0_sel:DWORD src1_sel:WORD_1
	s_waitcnt vmcnt(0)
	v_mul_f16_sdwa v34, v59, v30 dst_sel:DWORD dst_unused:UNUSED_PAD src0_sel:DWORD src1_sel:WORD_1
	v_mul_f16_sdwa v35, v52, v28 dst_sel:DWORD dst_unused:UNUSED_PAD src0_sel:DWORD src1_sel:WORD_1
	;; [unrolled: 1-line block ×11, first 2 shown]
	v_fma_f16 v21, v21, v25, -v33
	v_fma_f16 v24, v24, v30, -v34
	;; [unrolled: 1-line block ×6, first 2 shown]
	v_fmac_f16_e32 v49, v59, v30
	v_fmac_f16_e32 v50, v57, v25
	;; [unrolled: 1-line block ×6, first 2 shown]
	v_sub_f16_e32 v25, v21, v24
	v_sub_f16_e32 v26, v18, v17
	v_add_f16_e32 v28, v50, v49
	v_add_f16_e32 v30, v63, v62
	;; [unrolled: 1-line block ×5, first 2 shown]
	v_sub_f16_e32 v27, v22, v23
	v_add_f16_e32 v29, v60, v61
	v_sub_f16_e32 v22, v50, v49
	v_sub_f16_e32 v23, v61, v60
	;; [unrolled: 1-line block ×3, first 2 shown]
	v_add_f16_e32 v47, v30, v28
	v_add_f16_e32 v50, v18, v21
	v_sub_f16_e32 v33, v25, v26
	v_sub_f16_e32 v34, v26, v27
	v_add_f16_e32 v26, v26, v27
	v_sub_f16_e32 v35, v28, v29
	v_sub_f16_e32 v36, v29, v30
	;; [unrolled: 1-line block ×6, first 2 shown]
	v_add_f16_e32 v23, v23, v24
	v_sub_f16_e32 v27, v27, v25
	v_add_f16_e32 v29, v29, v47
	v_add_f16_e32 v17, v17, v50
	v_sub_f16_e32 v18, v18, v21
	v_sub_f16_e32 v21, v24, v22
	;; [unrolled: 1-line block ×3, first 2 shown]
	v_mul_f16_e32 v24, 0xb846, v34
	v_add_f16_e32 v25, v26, v25
	v_mul_f16_e32 v26, 0x3a52, v35
	v_mul_f16_e32 v34, 0x3a52, v48
	;; [unrolled: 1-line block ×3, first 2 shown]
	v_add_f16_e32 v22, v23, v22
	v_mul_f16_e32 v23, 0x3b00, v27
	v_add_f16_e32 v53, v55, v29
	v_add_f16_e32 v54, v54, v17
	v_mul_f16_e32 v30, 0x2b26, v36
	v_mul_f16_e32 v35, 0x2b26, v49
	;; [unrolled: 1-line block ×3, first 2 shown]
	v_fmamk_f16 v50, v33, 0x3574, v24
	v_fmamk_f16 v36, v36, 0x2b26, v26
	;; [unrolled: 1-line block ×4, first 2 shown]
	v_fma_f16 v23, v33, 0xb574, -v23
	v_fma_f16 v26, v28, 0xb9e0, -v26
	v_fma_f16 v24, v27, 0x3b00, -v24
	v_fmamk_f16 v27, v29, 0xbcab, v53
	v_fmamk_f16 v17, v17, 0xbcab, v54
	v_fma_f16 v33, v18, 0xb9e0, -v34
	v_fma_f16 v34, v52, 0xb574, -v48
	;; [unrolled: 1-line block ×5, first 2 shown]
	v_fmac_f16_e32 v50, 0x370e, v25
	v_fmac_f16_e32 v55, 0x370e, v22
	v_fmac_f16_e32 v23, 0x370e, v25
	v_fmac_f16_e32 v24, 0x370e, v25
	v_add_f16_e32 v25, v36, v27
	v_add_f16_e32 v29, v49, v17
	;; [unrolled: 1-line block ×3, first 2 shown]
	v_fmac_f16_e32 v34, 0x370e, v22
	v_fmac_f16_e32 v21, 0x370e, v22
	v_add_f16_e32 v30, v33, v17
	v_add_f16_e32 v27, v28, v27
	v_add_f16_e32 v17, v18, v17
	v_add_f16_e32 v18, v50, v25
	v_add_f16_e32 v33, v23, v26
	v_sub_f16_e32 v23, v26, v23
	v_sub_f16_e32 v25, v25, v50
	v_add_f16_e32 v26, v55, v29
	v_sub_f16_e32 v28, v29, v55
	v_sub_f16_e32 v35, v27, v24
	v_add_f16_e32 v24, v24, v27
	v_add_f16_e32 v27, v34, v30
	v_sub_f16_e32 v29, v17, v21
	v_add_f16_e32 v17, v21, v17
	v_sub_f16_e32 v21, v30, v34
	v_pack_b32_f16 v22, v54, v53
	v_pack_b32_f16 v25, v26, v25
	;; [unrolled: 1-line block ×7, first 2 shown]
	ds_write2_b32 v20, v22, v25 offset0:48 offset1:192
	ds_write2_b32 v31, v23, v24 offset0:16 offset1:160
	;; [unrolled: 1-line block ×3, first 2 shown]
	ds_write_b32 v10, v18 offset:3904
.LBB0_17:
	s_or_b32 exec_lo, exec_lo, s1
	s_waitcnt lgkmcnt(0)
	s_barrier
	buffer_gl0_inv
	ds_read_b32 v17, v10
	v_sub_nc_u32_e32 v18, 0, v4
	s_add_u32 s1, s12, 0xfb8
	s_addc_u32 s4, s13, 0
	s_mov_b32 s5, exec_lo
                                        ; implicit-def: $vgpr27
                                        ; implicit-def: $vgpr25
                                        ; implicit-def: $vgpr26
	v_cmpx_ne_u32_e32 0, v3
	s_xor_b32 s5, exec_lo, s5
	s_cbranch_execz .LBB0_19
; %bb.18:
	v_mov_b32_e32 v4, 0
	v_lshlrev_b64 v[20:21], 2, v[3:4]
	v_add_co_u32 v20, s0, s1, v20
	v_add_co_ci_u32_e64 v21, s0, s4, v21, s0
	global_load_dword v4, v[20:21], off
	ds_read_b32 v20, v18 offset:4032
	s_waitcnt lgkmcnt(0)
	v_pk_add_f16 v21, v17, v20 neg_lo:[0,1] neg_hi:[0,1]
	v_pk_add_f16 v17, v20, v17
	v_bfi_b32 v20, 0xffff, v21, v17
	v_bfi_b32 v17, 0xffff, v17, v21
	v_pk_mul_f16 v20, v20, 0.5 op_sel_hi:[1,0]
	v_pk_mul_f16 v22, v17, 0.5 op_sel_hi:[1,0]
	s_waitcnt vmcnt(0)
	v_pk_mul_f16 v21, v4, v20 op_sel:[1,0]
	v_pk_mul_f16 v4, v4, v20 op_sel_hi:[0,1]
	v_pk_fma_f16 v17, v17, 0.5, v21 op_sel_hi:[1,0,1]
	v_sub_f16_e32 v20, v22, v21
	v_sub_f16_sdwa v21, v21, v22 dst_sel:DWORD dst_unused:UNUSED_PAD src0_sel:WORD_1 src1_sel:WORD_1
	v_pk_add_f16 v23, v17, v4 op_sel:[0,1] op_sel_hi:[1,0]
	v_pk_add_f16 v17, v17, v4 op_sel:[0,1] op_sel_hi:[1,0] neg_lo:[0,1] neg_hi:[0,1]
	v_sub_f16_sdwa v25, v20, v4 dst_sel:DWORD dst_unused:UNUSED_PAD src0_sel:DWORD src1_sel:WORD_1
	v_sub_f16_e32 v26, v21, v4
	v_bfi_b32 v27, 0xffff, v23, v17
                                        ; implicit-def: $vgpr17
.LBB0_19:
	s_or_saveexec_b32 s0, s5
	v_sub_nc_u32_e32 v24, 0, v6
	v_sub_nc_u32_e32 v23, 0, v42
	;; [unrolled: 1-line block ×6, first 2 shown]
	s_xor_b32 exec_lo, exec_lo, s0
	s_cbranch_execz .LBB0_21
; %bb.20:
	v_mov_b32_e32 v26, 0
	s_waitcnt lgkmcnt(0)
	v_alignbit_b32 v25, s0, v17, 16
	ds_read_u16 v6, v26 offset:2018
	v_pk_add_f16 v27, v25, v17
	v_sub_f16_sdwa v25, v17, v17 dst_sel:DWORD dst_unused:UNUSED_PAD src0_sel:DWORD src1_sel:WORD_1
	v_pack_b32_f16 v27, v27, 0
	s_waitcnt lgkmcnt(0)
	v_xor_b32_e32 v6, 0x8000, v6
	ds_write_b16 v26, v6 offset:2018
.LBB0_21:
	s_or_b32 exec_lo, exec_lo, s0
	v_mov_b32_e32 v6, 0
	ds_write_b16 v18, v26 offset:4034
	v_add_nc_u32_e32 v0, v0, v4
	v_lshlrev_b64 v[28:29], 2, v[5:6]
	s_waitcnt lgkmcnt(1)
	v_mov_b32_e32 v17, v6
	v_lshlrev_b64 v[16:17], 2, v[16:17]
	v_add_co_u32 v28, s0, s1, v28
	v_add_co_ci_u32_e64 v29, s0, s4, v29, s0
	v_add_co_u32 v16, s0, s1, v16
	global_load_dword v5, v[28:29], off
	v_add_co_ci_u32_e64 v17, s0, s4, v17, s0
	global_load_dword v17, v[16:17], off
	v_mov_b32_e32 v16, v6
	v_lshlrev_b64 v[15:16], 2, v[15:16]
	v_add_co_u32 v15, s0, s1, v15
	v_add_co_ci_u32_e64 v16, s0, s4, v16, s0
	global_load_dword v16, v[15:16], off
	v_mov_b32_e32 v15, v6
	v_lshlrev_b64 v[14:15], 2, v[14:15]
	v_add_co_u32 v14, s0, s1, v14
	;; [unrolled: 5-line block ×3, first 2 shown]
	v_add_co_ci_u32_e64 v14, s0, s4, v14, s0
	global_load_dword v14, v[13:14], off
	v_mov_b32_e32 v13, v6
	ds_write_b32 v10, v27
	ds_write_b16 v18, v25 offset:4032
	ds_read_b32 v25, v19
	ds_read_b32 v26, v18 offset:3808
	v_mov_b32_e32 v10, v6
	v_lshlrev_b64 v[12:13], 2, v[12:13]
	v_lshlrev_b64 v[9:10], 2, v[9:10]
	v_add_co_u32 v12, s0, s1, v12
	v_add_co_ci_u32_e64 v13, s0, s4, v13, s0
	v_add_co_u32 v9, s0, s1, v9
	v_add_co_ci_u32_e64 v10, s0, s4, v10, s0
	global_load_dword v13, v[12:13], off
	v_mov_b32_e32 v12, v6
	s_waitcnt lgkmcnt(0)
	v_pk_add_f16 v27, v25, v26 neg_lo:[0,1] neg_hi:[0,1]
	v_pk_add_f16 v25, v25, v26
	v_lshlrev_b64 v[11:12], 2, v[11:12]
	v_bfi_b32 v26, 0xffff, v27, v25
	v_bfi_b32 v25, 0xffff, v25, v27
	v_add_co_u32 v11, s0, s1, v11
	v_add_co_ci_u32_e64 v12, s0, s4, v12, s0
	s_clause 0x1
	global_load_dword v9, v[9:10], off
	global_load_dword v10, v[11:12], off
	v_pk_mul_f16 v26, v26, 0.5 op_sel_hi:[1,0]
	v_pk_mul_f16 v25, v25, 0.5 op_sel_hi:[1,0]
	s_waitcnt vmcnt(7)
	v_pk_fma_f16 v11, v5, v26, v25 op_sel:[1,0,0]
	v_pk_mul_f16 v12, v5, v26 op_sel_hi:[0,1]
	v_pk_fma_f16 v27, v5, v26, v25 op_sel:[1,0,0] neg_lo:[1,0,0] neg_hi:[1,0,0]
	v_pk_fma_f16 v5, v5, v26, v25 op_sel:[1,0,0] neg_lo:[0,0,1] neg_hi:[0,0,1]
	v_pk_add_f16 v25, v11, v12 op_sel:[0,1] op_sel_hi:[1,0]
	v_pk_add_f16 v11, v11, v12 op_sel:[0,1] op_sel_hi:[1,0] neg_lo:[0,1] neg_hi:[0,1]
	v_pk_add_f16 v26, v27, v12 op_sel:[0,1] op_sel_hi:[1,0] neg_lo:[0,1] neg_hi:[0,1]
	;; [unrolled: 1-line block ×3, first 2 shown]
	v_bfi_b32 v11, 0xffff, v25, v11
	v_bfi_b32 v5, 0xffff, v26, v5
	ds_write_b32 v19, v11
	ds_write_b32 v18, v5 offset:3808
	ds_read_b32 v5, v51
	ds_read_b32 v11, v18 offset:3584
	s_waitcnt lgkmcnt(0)
	v_pk_add_f16 v12, v5, v11 neg_lo:[0,1] neg_hi:[0,1]
	v_pk_add_f16 v5, v5, v11
	v_bfi_b32 v11, 0xffff, v12, v5
	v_bfi_b32 v5, 0xffff, v5, v12
	v_pk_mul_f16 v11, v11, 0.5 op_sel_hi:[1,0]
	v_pk_mul_f16 v5, v5, 0.5 op_sel_hi:[1,0]
	s_waitcnt vmcnt(6)
	v_pk_mul_f16 v19, v17, v11 op_sel_hi:[0,1]
	v_pk_fma_f16 v12, v17, v11, v5 op_sel:[1,0,0]
	v_pk_fma_f16 v25, v17, v11, v5 op_sel:[1,0,0] neg_lo:[1,0,0] neg_hi:[1,0,0]
	v_pk_fma_f16 v5, v17, v11, v5 op_sel:[1,0,0] neg_lo:[0,0,1] neg_hi:[0,0,1]
	v_pk_add_f16 v11, v12, v19 op_sel:[0,1] op_sel_hi:[1,0]
	v_pk_add_f16 v12, v12, v19 op_sel:[0,1] op_sel_hi:[1,0] neg_lo:[0,1] neg_hi:[0,1]
	v_pk_add_f16 v17, v25, v19 op_sel:[0,1] op_sel_hi:[1,0] neg_lo:[0,1] neg_hi:[0,1]
	v_pk_add_f16 v5, v5, v19 op_sel:[0,1] op_sel_hi:[1,0] neg_lo:[0,1] neg_hi:[0,1]
	v_bfi_b32 v11, 0xffff, v11, v12
	v_add_nc_u32_e32 v12, v41, v24
	v_bfi_b32 v5, 0xffff, v17, v5
	ds_write_b32 v51, v11
	ds_write_b32 v18, v5 offset:3584
	ds_read_b32 v5, v12
	ds_read_b32 v11, v18 offset:3360
	s_waitcnt lgkmcnt(0)
	v_pk_add_f16 v17, v5, v11 neg_lo:[0,1] neg_hi:[0,1]
	v_pk_add_f16 v5, v5, v11
	v_bfi_b32 v11, 0xffff, v17, v5
	v_bfi_b32 v5, 0xffff, v5, v17
	v_pk_mul_f16 v11, v11, 0.5 op_sel_hi:[1,0]
	v_pk_mul_f16 v5, v5, 0.5 op_sel_hi:[1,0]
	s_waitcnt vmcnt(5)
	v_pk_mul_f16 v19, v16, v11 op_sel_hi:[0,1]
	v_pk_fma_f16 v17, v16, v11, v5 op_sel:[1,0,0]
	v_pk_fma_f16 v24, v16, v11, v5 op_sel:[1,0,0] neg_lo:[1,0,0] neg_hi:[1,0,0]
	v_pk_fma_f16 v5, v16, v11, v5 op_sel:[1,0,0] neg_lo:[0,0,1] neg_hi:[0,0,1]
	v_pk_add_f16 v11, v17, v19 op_sel:[0,1] op_sel_hi:[1,0]
	v_pk_add_f16 v16, v17, v19 op_sel:[0,1] op_sel_hi:[1,0] neg_lo:[0,1] neg_hi:[0,1]
	v_pk_add_f16 v17, v24, v19 op_sel:[0,1] op_sel_hi:[1,0] neg_lo:[0,1] neg_hi:[0,1]
	v_pk_add_f16 v5, v5, v19 op_sel:[0,1] op_sel_hi:[1,0] neg_lo:[0,1] neg_hi:[0,1]
	v_bfi_b32 v11, 0xffff, v11, v16
	v_add_nc_u32_e32 v16, v40, v23
	;; [unrolled: 23-line block ×5, first 2 shown]
	v_bfi_b32 v5, 0xffff, v13, v5
	ds_write_b32 v14, v11
	ds_write_b32 v18, v5 offset:2688
	ds_read_b32 v5, v12
	ds_read_b32 v11, v18 offset:2464
	s_waitcnt lgkmcnt(0)
	v_pk_add_f16 v13, v5, v11 neg_lo:[0,1] neg_hi:[0,1]
	v_pk_add_f16 v5, v5, v11
	v_bfi_b32 v11, 0xffff, v13, v5
	v_bfi_b32 v5, 0xffff, v5, v13
	v_pk_mul_f16 v11, v11, 0.5 op_sel_hi:[1,0]
	v_pk_mul_f16 v5, v5, 0.5 op_sel_hi:[1,0]
	s_waitcnt vmcnt(1)
	v_pk_mul_f16 v14, v9, v11 op_sel_hi:[0,1]
	v_pk_fma_f16 v13, v9, v11, v5 op_sel:[1,0,0]
	v_pk_fma_f16 v15, v9, v11, v5 op_sel:[1,0,0] neg_lo:[1,0,0] neg_hi:[1,0,0]
	v_pk_fma_f16 v5, v9, v11, v5 op_sel:[1,0,0] neg_lo:[0,0,1] neg_hi:[0,0,1]
	v_pk_add_f16 v9, v13, v14 op_sel:[0,1] op_sel_hi:[1,0]
	v_pk_add_f16 v11, v13, v14 op_sel:[0,1] op_sel_hi:[1,0] neg_lo:[0,1] neg_hi:[0,1]
	v_pk_add_f16 v13, v15, v14 op_sel:[0,1] op_sel_hi:[1,0] neg_lo:[0,1] neg_hi:[0,1]
	;; [unrolled: 1-line block ×3, first 2 shown]
	v_bfi_b32 v9, 0xffff, v9, v11
	v_bfi_b32 v5, 0xffff, v13, v5
	ds_write_b32 v12, v9
	ds_write_b32 v18, v5 offset:2464
	ds_read_b32 v4, v0
	ds_read_b32 v5, v18 offset:2240
	s_waitcnt lgkmcnt(0)
	v_pk_add_f16 v9, v4, v5 neg_lo:[0,1] neg_hi:[0,1]
	v_pk_add_f16 v4, v4, v5
	v_bfi_b32 v5, 0xffff, v9, v4
	v_bfi_b32 v4, 0xffff, v4, v9
	v_pk_mul_f16 v5, v5, 0.5 op_sel_hi:[1,0]
	v_pk_mul_f16 v4, v4, 0.5 op_sel_hi:[1,0]
	s_waitcnt vmcnt(0)
	v_pk_mul_f16 v11, v10, v5 op_sel_hi:[0,1]
	v_pk_fma_f16 v9, v10, v5, v4 op_sel:[1,0,0]
	v_pk_fma_f16 v12, v10, v5, v4 op_sel:[1,0,0] neg_lo:[1,0,0] neg_hi:[1,0,0]
	v_pk_fma_f16 v4, v10, v5, v4 op_sel:[1,0,0] neg_lo:[0,0,1] neg_hi:[0,0,1]
	v_pk_add_f16 v5, v9, v11 op_sel:[0,1] op_sel_hi:[1,0]
	v_pk_add_f16 v9, v9, v11 op_sel:[0,1] op_sel_hi:[1,0] neg_lo:[0,1] neg_hi:[0,1]
	v_pk_add_f16 v10, v12, v11 op_sel:[0,1] op_sel_hi:[1,0] neg_lo:[0,1] neg_hi:[0,1]
	;; [unrolled: 1-line block ×3, first 2 shown]
	v_bfi_b32 v5, 0xffff, v5, v9
	v_bfi_b32 v4, 0xffff, v10, v4
	ds_write_b32 v0, v5
	ds_write_b32 v18, v4 offset:2240
	s_waitcnt lgkmcnt(0)
	s_barrier
	buffer_gl0_inv
	s_and_saveexec_b32 s0, vcc_lo
	s_cbranch_execz .LBB0_24
; %bb.22:
	v_mul_lo_u32 v0, s3, v7
	v_mul_lo_u32 v4, s2, v8
	v_mad_u64_u32 v[7:8], null, s2, v7, 0
	v_lshl_add_u32 v23, v3, 2, 0
	v_add_nc_u32_e32 v5, 56, v3
	ds_read2_b32 v[9:10], v23 offset1:56
	v_add3_u32 v8, v8, v4, v0
	v_mov_b32_e32 v4, v6
	v_lshlrev_b64 v[0:1], 2, v[1:2]
	v_lshlrev_b64 v[13:14], 2, v[5:6]
	v_add_nc_u32_e32 v5, 0x70, v3
	v_lshlrev_b64 v[7:8], 2, v[7:8]
	v_lshlrev_b64 v[11:12], 2, v[3:4]
	ds_read2_b32 v[15:16], v23 offset0:112 offset1:168
	v_add_co_u32 v2, vcc_lo, s10, v7
	v_add_co_ci_u32_e32 v4, vcc_lo, s11, v8, vcc_lo
	v_lshlrev_b64 v[7:8], 2, v[5:6]
	v_add_co_u32 v0, vcc_lo, v2, v0
	v_add_co_ci_u32_e32 v1, vcc_lo, v4, v1, vcc_lo
	v_add_nc_u32_e32 v5, 0xa8, v3
	v_add_co_u32 v11, vcc_lo, v0, v11
	v_add_co_ci_u32_e32 v12, vcc_lo, v1, v12, vcc_lo
	v_add_co_u32 v13, vcc_lo, v0, v13
	v_add_co_ci_u32_e32 v14, vcc_lo, v1, v14, vcc_lo
	v_add_nc_u32_e32 v2, 0x200, v23
	s_waitcnt lgkmcnt(1)
	global_store_dword v[11:12], v9, off
	global_store_dword v[13:14], v10, off
	v_lshlrev_b64 v[9:10], 2, v[5:6]
	v_add_nc_u32_e32 v5, 0xe0, v3
	ds_read2_b32 v[11:12], v2 offset0:96 offset1:152
	v_add_co_u32 v7, vcc_lo, v0, v7
	v_add_nc_u32_e32 v2, 0x400, v23
	v_lshlrev_b64 v[13:14], 2, v[5:6]
	v_add_nc_u32_e32 v5, 0x118, v3
	v_add_co_ci_u32_e32 v8, vcc_lo, v1, v8, vcc_lo
	v_add_co_u32 v9, vcc_lo, v0, v9
	v_lshlrev_b64 v[17:18], 2, v[5:6]
	v_add_nc_u32_e32 v5, 0x150, v3
	v_add_co_ci_u32_e32 v10, vcc_lo, v1, v10, vcc_lo
	ds_read2_b32 v[19:20], v2 offset0:80 offset1:136
	v_add_co_u32 v13, vcc_lo, v0, v13
	v_add_co_ci_u32_e32 v14, vcc_lo, v1, v14, vcc_lo
	v_lshlrev_b64 v[21:22], 2, v[5:6]
	v_add_nc_u32_e32 v5, 0x188, v3
	v_add_co_u32 v17, vcc_lo, v0, v17
	v_add_co_ci_u32_e32 v18, vcc_lo, v1, v18, vcc_lo
	s_waitcnt lgkmcnt(2)
	global_store_dword v[7:8], v15, off
	global_store_dword v[9:10], v16, off
	s_waitcnt lgkmcnt(1)
	global_store_dword v[13:14], v11, off
	global_store_dword v[17:18], v12, off
	v_lshlrev_b64 v[7:8], 2, v[5:6]
	v_add_co_u32 v9, vcc_lo, v0, v21
	v_add_co_ci_u32_e32 v10, vcc_lo, v1, v22, vcc_lo
	v_add_nc_u32_e32 v5, 0x1c0, v3
	v_add_co_u32 v7, vcc_lo, v0, v7
	v_add_co_ci_u32_e32 v8, vcc_lo, v1, v8, vcc_lo
	v_add_nc_u32_e32 v4, 0x800, v23
	v_lshlrev_b64 v[11:12], 2, v[5:6]
	v_add_nc_u32_e32 v5, 0x1f8, v3
	s_waitcnt lgkmcnt(0)
	global_store_dword v[9:10], v19, off
	global_store_dword v[7:8], v20, off
	ds_read2_b32 v[7:8], v2 offset0:192 offset1:248
	ds_read2_b32 v[13:14], v4 offset0:48 offset1:104
	v_add_nc_u32_e32 v2, 0xc00, v23
	v_lshlrev_b64 v[9:10], 2, v[5:6]
	v_add_nc_u32_e32 v5, 0x230, v3
	v_add_co_u32 v11, vcc_lo, v0, v11
	v_add_co_ci_u32_e32 v12, vcc_lo, v1, v12, vcc_lo
	v_lshlrev_b64 v[15:16], 2, v[5:6]
	v_add_co_u32 v9, vcc_lo, v0, v9
	v_add_co_ci_u32_e32 v10, vcc_lo, v1, v10, vcc_lo
	v_add_nc_u32_e32 v5, 0x268, v3
	v_add_co_u32 v15, vcc_lo, v0, v15
	v_add_co_ci_u32_e32 v16, vcc_lo, v1, v16, vcc_lo
	v_lshlrev_b64 v[17:18], 2, v[5:6]
	v_add_nc_u32_e32 v5, 0x2a0, v3
	s_waitcnt lgkmcnt(1)
	global_store_dword v[11:12], v7, off
	global_store_dword v[9:10], v8, off
	s_waitcnt lgkmcnt(0)
	global_store_dword v[15:16], v13, off
	ds_read2_b32 v[7:8], v4 offset0:160 offset1:216
	v_lshlrev_b64 v[9:10], 2, v[5:6]
	v_add_nc_u32_e32 v5, 0x2d8, v3
	v_add_co_u32 v11, vcc_lo, v0, v17
	v_add_co_ci_u32_e32 v12, vcc_lo, v1, v18, vcc_lo
	v_lshlrev_b64 v[15:16], 2, v[5:6]
	v_add_nc_u32_e32 v5, 0x310, v3
	v_add_co_u32 v9, vcc_lo, v0, v9
	v_add_co_ci_u32_e32 v10, vcc_lo, v1, v10, vcc_lo
	v_add_co_u32 v15, vcc_lo, v0, v15
	v_lshlrev_b64 v[17:18], 2, v[5:6]
	v_add_nc_u32_e32 v5, 0x348, v3
	v_add_co_ci_u32_e32 v16, vcc_lo, v1, v16, vcc_lo
	global_store_dword v[11:12], v14, off
	s_waitcnt lgkmcnt(0)
	global_store_dword v[9:10], v7, off
	global_store_dword v[15:16], v8, off
	v_lshlrev_b64 v[9:10], 2, v[5:6]
	v_add_nc_u32_e32 v5, 0x380, v3
	ds_read2_b32 v[7:8], v2 offset0:16 offset1:72
	ds_read2_b32 v[11:12], v2 offset0:128 offset1:184
	v_add_co_u32 v13, vcc_lo, v0, v17
	v_lshlrev_b64 v[15:16], 2, v[5:6]
	v_add_nc_u32_e32 v5, 0x3b8, v3
	v_add_co_ci_u32_e32 v14, vcc_lo, v1, v18, vcc_lo
	v_add_co_u32 v9, vcc_lo, v0, v9
	v_lshlrev_b64 v[4:5], 2, v[5:6]
	v_add_co_ci_u32_e32 v10, vcc_lo, v1, v10, vcc_lo
	v_add_co_u32 v15, vcc_lo, v0, v15
	v_add_co_ci_u32_e32 v16, vcc_lo, v1, v16, vcc_lo
	v_add_co_u32 v4, vcc_lo, v0, v4
	v_add_co_ci_u32_e32 v5, vcc_lo, v1, v5, vcc_lo
	v_cmp_eq_u32_e32 vcc_lo, 55, v3
	s_waitcnt lgkmcnt(1)
	global_store_dword v[13:14], v7, off
	global_store_dword v[9:10], v8, off
	s_waitcnt lgkmcnt(0)
	global_store_dword v[15:16], v11, off
	global_store_dword v[4:5], v12, off
	s_and_b32 exec_lo, exec_lo, vcc_lo
	s_cbranch_execz .LBB0_24
; %bb.23:
	v_mov_b32_e32 v2, 0
	v_add_co_u32 v0, vcc_lo, 0x800, v0
	v_add_co_ci_u32_e32 v1, vcc_lo, 0, v1, vcc_lo
	ds_read_b32 v2, v2 offset:4032
	s_waitcnt lgkmcnt(0)
	global_store_dword v[0:1], v2, off offset:1984
.LBB0_24:
	s_endpgm
	.section	.rodata,"a",@progbits
	.p2align	6, 0x0
	.amdhsa_kernel fft_rtc_fwd_len1008_factors_2_2_2_2_3_3_7_wgs_56_tpt_56_halfLds_half_op_CI_CI_unitstride_sbrr_R2C_dirReg
		.amdhsa_group_segment_fixed_size 0
		.amdhsa_private_segment_fixed_size 0
		.amdhsa_kernarg_size 104
		.amdhsa_user_sgpr_count 6
		.amdhsa_user_sgpr_private_segment_buffer 1
		.amdhsa_user_sgpr_dispatch_ptr 0
		.amdhsa_user_sgpr_queue_ptr 0
		.amdhsa_user_sgpr_kernarg_segment_ptr 1
		.amdhsa_user_sgpr_dispatch_id 0
		.amdhsa_user_sgpr_flat_scratch_init 0
		.amdhsa_user_sgpr_private_segment_size 0
		.amdhsa_wavefront_size32 1
		.amdhsa_uses_dynamic_stack 0
		.amdhsa_system_sgpr_private_segment_wavefront_offset 0
		.amdhsa_system_sgpr_workgroup_id_x 1
		.amdhsa_system_sgpr_workgroup_id_y 0
		.amdhsa_system_sgpr_workgroup_id_z 0
		.amdhsa_system_sgpr_workgroup_info 0
		.amdhsa_system_vgpr_workitem_id 0
		.amdhsa_next_free_vgpr 102
		.amdhsa_next_free_sgpr 27
		.amdhsa_reserve_vcc 1
		.amdhsa_reserve_flat_scratch 0
		.amdhsa_float_round_mode_32 0
		.amdhsa_float_round_mode_16_64 0
		.amdhsa_float_denorm_mode_32 3
		.amdhsa_float_denorm_mode_16_64 3
		.amdhsa_dx10_clamp 1
		.amdhsa_ieee_mode 1
		.amdhsa_fp16_overflow 0
		.amdhsa_workgroup_processor_mode 1
		.amdhsa_memory_ordered 1
		.amdhsa_forward_progress 0
		.amdhsa_shared_vgpr_count 0
		.amdhsa_exception_fp_ieee_invalid_op 0
		.amdhsa_exception_fp_denorm_src 0
		.amdhsa_exception_fp_ieee_div_zero 0
		.amdhsa_exception_fp_ieee_overflow 0
		.amdhsa_exception_fp_ieee_underflow 0
		.amdhsa_exception_fp_ieee_inexact 0
		.amdhsa_exception_int_div_zero 0
	.end_amdhsa_kernel
	.text
.Lfunc_end0:
	.size	fft_rtc_fwd_len1008_factors_2_2_2_2_3_3_7_wgs_56_tpt_56_halfLds_half_op_CI_CI_unitstride_sbrr_R2C_dirReg, .Lfunc_end0-fft_rtc_fwd_len1008_factors_2_2_2_2_3_3_7_wgs_56_tpt_56_halfLds_half_op_CI_CI_unitstride_sbrr_R2C_dirReg
                                        ; -- End function
	.section	.AMDGPU.csdata,"",@progbits
; Kernel info:
; codeLenInByte = 13856
; NumSgprs: 29
; NumVgprs: 102
; ScratchSize: 0
; MemoryBound: 0
; FloatMode: 240
; IeeeMode: 1
; LDSByteSize: 0 bytes/workgroup (compile time only)
; SGPRBlocks: 3
; VGPRBlocks: 12
; NumSGPRsForWavesPerEU: 29
; NumVGPRsForWavesPerEU: 102
; Occupancy: 9
; WaveLimiterHint : 1
; COMPUTE_PGM_RSRC2:SCRATCH_EN: 0
; COMPUTE_PGM_RSRC2:USER_SGPR: 6
; COMPUTE_PGM_RSRC2:TRAP_HANDLER: 0
; COMPUTE_PGM_RSRC2:TGID_X_EN: 1
; COMPUTE_PGM_RSRC2:TGID_Y_EN: 0
; COMPUTE_PGM_RSRC2:TGID_Z_EN: 0
; COMPUTE_PGM_RSRC2:TIDIG_COMP_CNT: 0
	.text
	.p2alignl 6, 3214868480
	.fill 48, 4, 3214868480
	.type	__hip_cuid_f2949b24bc1ff42,@object ; @__hip_cuid_f2949b24bc1ff42
	.section	.bss,"aw",@nobits
	.globl	__hip_cuid_f2949b24bc1ff42
__hip_cuid_f2949b24bc1ff42:
	.byte	0                               ; 0x0
	.size	__hip_cuid_f2949b24bc1ff42, 1

	.ident	"AMD clang version 19.0.0git (https://github.com/RadeonOpenCompute/llvm-project roc-6.4.0 25133 c7fe45cf4b819c5991fe208aaa96edf142730f1d)"
	.section	".note.GNU-stack","",@progbits
	.addrsig
	.addrsig_sym __hip_cuid_f2949b24bc1ff42
	.amdgpu_metadata
---
amdhsa.kernels:
  - .args:
      - .actual_access:  read_only
        .address_space:  global
        .offset:         0
        .size:           8
        .value_kind:     global_buffer
      - .offset:         8
        .size:           8
        .value_kind:     by_value
      - .actual_access:  read_only
        .address_space:  global
        .offset:         16
        .size:           8
        .value_kind:     global_buffer
      - .actual_access:  read_only
        .address_space:  global
        .offset:         24
        .size:           8
        .value_kind:     global_buffer
      - .actual_access:  read_only
        .address_space:  global
        .offset:         32
        .size:           8
        .value_kind:     global_buffer
      - .offset:         40
        .size:           8
        .value_kind:     by_value
      - .actual_access:  read_only
        .address_space:  global
        .offset:         48
        .size:           8
        .value_kind:     global_buffer
      - .actual_access:  read_only
        .address_space:  global
        .offset:         56
        .size:           8
        .value_kind:     global_buffer
      - .offset:         64
        .size:           4
        .value_kind:     by_value
      - .actual_access:  read_only
        .address_space:  global
        .offset:         72
        .size:           8
        .value_kind:     global_buffer
      - .actual_access:  read_only
        .address_space:  global
        .offset:         80
        .size:           8
        .value_kind:     global_buffer
      - .actual_access:  read_only
        .address_space:  global
        .offset:         88
        .size:           8
        .value_kind:     global_buffer
      - .actual_access:  write_only
        .address_space:  global
        .offset:         96
        .size:           8
        .value_kind:     global_buffer
    .group_segment_fixed_size: 0
    .kernarg_segment_align: 8
    .kernarg_segment_size: 104
    .language:       OpenCL C
    .language_version:
      - 2
      - 0
    .max_flat_workgroup_size: 56
    .name:           fft_rtc_fwd_len1008_factors_2_2_2_2_3_3_7_wgs_56_tpt_56_halfLds_half_op_CI_CI_unitstride_sbrr_R2C_dirReg
    .private_segment_fixed_size: 0
    .sgpr_count:     29
    .sgpr_spill_count: 0
    .symbol:         fft_rtc_fwd_len1008_factors_2_2_2_2_3_3_7_wgs_56_tpt_56_halfLds_half_op_CI_CI_unitstride_sbrr_R2C_dirReg.kd
    .uniform_work_group_size: 1
    .uses_dynamic_stack: false
    .vgpr_count:     102
    .vgpr_spill_count: 0
    .wavefront_size: 32
    .workgroup_processor_mode: 1
amdhsa.target:   amdgcn-amd-amdhsa--gfx1030
amdhsa.version:
  - 1
  - 2
...

	.end_amdgpu_metadata
